;; amdgpu-corpus repo=ROCm/rocFFT kind=compiled arch=gfx1100 opt=O3
	.text
	.amdgcn_target "amdgcn-amd-amdhsa--gfx1100"
	.amdhsa_code_object_version 6
	.protected	fft_rtc_back_len240_factors_2_3_10_2_2_wgs_180_tpt_20_dim3_sp_ip_CI_sbcc_twdbase8_2step_dirReg_intrinsicReadWrite ; -- Begin function fft_rtc_back_len240_factors_2_3_10_2_2_wgs_180_tpt_20_dim3_sp_ip_CI_sbcc_twdbase8_2step_dirReg_intrinsicReadWrite
	.globl	fft_rtc_back_len240_factors_2_3_10_2_2_wgs_180_tpt_20_dim3_sp_ip_CI_sbcc_twdbase8_2step_dirReg_intrinsicReadWrite
	.p2align	8
	.type	fft_rtc_back_len240_factors_2_3_10_2_2_wgs_180_tpt_20_dim3_sp_ip_CI_sbcc_twdbase8_2step_dirReg_intrinsicReadWrite,@function
fft_rtc_back_len240_factors_2_3_10_2_2_wgs_180_tpt_20_dim3_sp_ip_CI_sbcc_twdbase8_2step_dirReg_intrinsicReadWrite: ; @fft_rtc_back_len240_factors_2_3_10_2_2_wgs_180_tpt_20_dim3_sp_ip_CI_sbcc_twdbase8_2step_dirReg_intrinsicReadWrite
; %bb.0:
	s_load_b128 s[4:7], s[0:1], 0x10
	s_mov_b32 s10, s15
	s_waitcnt lgkmcnt(0)
	s_load_b64 s[2:3], s[4:5], 0x8
	s_waitcnt lgkmcnt(0)
	s_add_u32 s8, s2, -1
	s_addc_u32 s9, s3, -1
	s_add_u32 s11, 0, 0x71c4fc00
	s_addc_u32 s12, 0, 0x7c
	s_mul_hi_u32 s14, s11, -9
	s_add_i32 s12, s12, 0x1c71c6a0
	s_sub_i32 s14, s14, s11
	s_mul_i32 s16, s12, -9
	s_mul_i32 s13, s11, -9
	s_add_i32 s14, s14, s16
	s_mul_hi_u32 s15, s11, s13
	s_mul_i32 s18, s11, s14
	s_mul_hi_u32 s16, s11, s14
	s_mul_hi_u32 s17, s12, s13
	s_mul_i32 s13, s12, s13
	s_add_u32 s15, s15, s18
	s_addc_u32 s16, 0, s16
	s_mul_hi_u32 s19, s12, s14
	s_add_u32 s13, s15, s13
	s_mul_i32 s14, s12, s14
	s_addc_u32 s13, s16, s17
	s_addc_u32 s15, s19, 0
	s_add_u32 s13, s13, s14
	s_delay_alu instid0(SALU_CYCLE_1) | instskip(SKIP_3) | instid1(VALU_DEP_1)
	v_add_co_u32 v1, s11, s11, s13
	s_addc_u32 s13, 0, s15
	s_cmp_lg_u32 s11, 0
	s_addc_u32 s11, s12, s13
	v_readfirstlane_b32 s12, v1
	s_mul_i32 s14, s8, s11
	s_mul_hi_u32 s13, s8, s11
	s_mul_hi_u32 s15, s9, s11
	s_mul_i32 s11, s9, s11
	s_mul_hi_u32 s16, s8, s12
	s_mul_hi_u32 s17, s9, s12
	s_mul_i32 s12, s9, s12
	s_add_u32 s14, s16, s14
	s_addc_u32 s13, 0, s13
	s_add_u32 s12, s14, s12
	s_addc_u32 s12, s13, s17
	s_addc_u32 s13, s15, 0
	s_add_u32 s12, s12, s11
	s_addc_u32 s13, 0, s13
	s_mul_i32 s14, s12, 9
	s_add_u32 s11, s12, 1
	v_sub_co_u32 v1, s8, s8, s14
	s_mul_hi_u32 s14, s12, 9
	s_addc_u32 s15, s13, 0
	s_mul_i32 s16, s13, 9
	s_delay_alu instid0(VALU_DEP_1)
	v_sub_co_u32 v2, s17, v1, 9
	s_add_u32 s18, s12, 2
	s_addc_u32 s19, s13, 0
	s_add_i32 s14, s14, s16
	s_cmp_lg_u32 s8, 0
	v_readfirstlane_b32 s8, v2
	s_subb_u32 s9, s9, s14
	s_cmp_lg_u32 s17, 0
	s_mov_b64 s[16:17], 0
	s_subb_u32 s14, s9, 0
	s_cmp_gt_u32 s8, 8
	s_cselect_b32 s8, -1, 0
	s_cmp_eq_u32 s14, 0
	v_readfirstlane_b32 s14, v1
	s_cselect_b32 s8, s8, -1
	s_delay_alu instid0(SALU_CYCLE_1)
	s_cmp_lg_u32 s8, 0
	s_cselect_b32 s8, s18, s11
	s_cselect_b32 s15, s19, s15
	s_cmp_gt_u32 s14, 8
	s_cselect_b32 s11, -1, 0
	s_cmp_eq_u32 s9, 0
	s_cselect_b32 s9, s11, -1
	s_mov_b32 s11, 0
	s_cmp_lg_u32 s9, 0
	s_cselect_b32 s8, s8, s12
	s_cselect_b32 s9, s15, s13
	s_add_u32 s12, s8, 1
	s_addc_u32 s13, s9, 0
	s_delay_alu instid0(SALU_CYCLE_1) | instskip(NEXT) | instid1(VALU_DEP_1)
	v_cmp_lt_u64_e64 s8, s[10:11], s[12:13]
	s_and_b32 vcc_lo, exec_lo, s8
	s_cbranch_vccnz .LBB0_2
; %bb.1:
	v_cvt_f32_u32_e32 v1, s12
	s_sub_i32 s9, 0, s12
	s_mov_b32 s17, s11
	s_delay_alu instid0(VALU_DEP_1) | instskip(SKIP_2) | instid1(VALU_DEP_1)
	v_rcp_iflag_f32_e32 v1, v1
	s_waitcnt_depctr 0xfff
	v_mul_f32_e32 v1, 0x4f7ffffe, v1
	v_cvt_u32_f32_e32 v1, v1
	s_delay_alu instid0(VALU_DEP_1) | instskip(NEXT) | instid1(VALU_DEP_1)
	v_readfirstlane_b32 s8, v1
	s_mul_i32 s9, s9, s8
	s_delay_alu instid0(SALU_CYCLE_1) | instskip(NEXT) | instid1(SALU_CYCLE_1)
	s_mul_hi_u32 s9, s8, s9
	s_add_i32 s8, s8, s9
	s_delay_alu instid0(SALU_CYCLE_1) | instskip(NEXT) | instid1(SALU_CYCLE_1)
	s_mul_hi_u32 s8, s10, s8
	s_mul_i32 s9, s8, s12
	s_add_i32 s14, s8, 1
	s_sub_i32 s9, s10, s9
	s_delay_alu instid0(SALU_CYCLE_1)
	s_sub_i32 s15, s9, s12
	s_cmp_ge_u32 s9, s12
	s_cselect_b32 s8, s14, s8
	s_cselect_b32 s9, s15, s9
	s_add_i32 s14, s8, 1
	s_cmp_ge_u32 s9, s12
	s_cselect_b32 s16, s14, s8
.LBB0_2:
	s_load_b64 s[22:23], s[4:5], 0x10
	s_load_b64 s[14:15], s[6:7], 0x8
	s_mov_b64 s[18:19], s[16:17]
	s_waitcnt lgkmcnt(0)
	v_cmp_lt_u64_e64 s4, s[16:17], s[22:23]
	s_delay_alu instid0(VALU_DEP_1)
	s_and_b32 vcc_lo, exec_lo, s4
	s_cbranch_vccnz .LBB0_4
; %bb.3:
	v_cvt_f32_u32_e32 v1, s22
	s_sub_i32 s5, 0, s22
	s_delay_alu instid0(VALU_DEP_1) | instskip(SKIP_2) | instid1(VALU_DEP_1)
	v_rcp_iflag_f32_e32 v1, v1
	s_waitcnt_depctr 0xfff
	v_mul_f32_e32 v1, 0x4f7ffffe, v1
	v_cvt_u32_f32_e32 v1, v1
	s_delay_alu instid0(VALU_DEP_1) | instskip(NEXT) | instid1(VALU_DEP_1)
	v_readfirstlane_b32 s4, v1
	s_mul_i32 s5, s5, s4
	s_delay_alu instid0(SALU_CYCLE_1) | instskip(NEXT) | instid1(SALU_CYCLE_1)
	s_mul_hi_u32 s5, s4, s5
	s_add_i32 s4, s4, s5
	s_delay_alu instid0(SALU_CYCLE_1) | instskip(NEXT) | instid1(SALU_CYCLE_1)
	s_mul_hi_u32 s4, s16, s4
	s_mul_i32 s4, s4, s22
	s_delay_alu instid0(SALU_CYCLE_1) | instskip(NEXT) | instid1(SALU_CYCLE_1)
	s_sub_i32 s4, s16, s4
	s_sub_i32 s5, s4, s22
	s_cmp_ge_u32 s4, s22
	s_cselect_b32 s4, s5, s4
	s_delay_alu instid0(SALU_CYCLE_1)
	s_sub_i32 s5, s4, s22
	s_cmp_ge_u32 s4, s22
	s_cselect_b32 s18, s5, s4
.LBB0_4:
	s_load_b64 s[4:5], s[0:1], 0x50
	s_clause 0x1
	s_load_b64 s[8:9], s[6:7], 0x0
	s_load_b64 s[20:21], s[6:7], 0x10
	s_mul_i32 s17, s22, s13
	s_waitcnt lgkmcnt(0)
	s_mul_hi_u32 s9, s22, s12
	s_mul_i32 s24, s22, s12
	s_add_i32 s9, s9, s17
	s_mul_i32 s17, s23, s12
	s_mov_b64 s[22:23], 0
	s_add_i32 s25, s9, s17
	s_delay_alu instid0(SALU_CYCLE_1) | instskip(NEXT) | instid1(VALU_DEP_1)
	v_cmp_lt_u64_e64 s9, s[10:11], s[24:25]
	s_and_b32 vcc_lo, exec_lo, s9
	s_cbranch_vccnz .LBB0_6
; %bb.5:
	v_cvt_f32_u32_e32 v1, s24
	s_sub_i32 s11, 0, s24
	s_delay_alu instid0(VALU_DEP_1) | instskip(SKIP_2) | instid1(VALU_DEP_1)
	v_rcp_iflag_f32_e32 v1, v1
	s_waitcnt_depctr 0xfff
	v_mul_f32_e32 v1, 0x4f7ffffe, v1
	v_cvt_u32_f32_e32 v1, v1
	s_delay_alu instid0(VALU_DEP_1) | instskip(NEXT) | instid1(VALU_DEP_1)
	v_readfirstlane_b32 s9, v1
	s_mul_i32 s11, s11, s9
	s_delay_alu instid0(SALU_CYCLE_1) | instskip(NEXT) | instid1(SALU_CYCLE_1)
	s_mul_hi_u32 s11, s9, s11
	s_add_i32 s9, s9, s11
	s_delay_alu instid0(SALU_CYCLE_1) | instskip(NEXT) | instid1(SALU_CYCLE_1)
	s_mul_hi_u32 s9, s10, s9
	s_mul_i32 s11, s9, s24
	s_add_i32 s17, s9, 1
	s_sub_i32 s11, s10, s11
	s_delay_alu instid0(SALU_CYCLE_1)
	s_sub_i32 s19, s11, s24
	s_cmp_ge_u32 s11, s24
	s_cselect_b32 s9, s17, s9
	s_cselect_b32 s11, s19, s11
	s_add_i32 s17, s9, 1
	s_cmp_ge_u32 s11, s24
	s_cselect_b32 s22, s17, s9
.LBB0_6:
	v_mul_u32_u24_e32 v1, 0x1c72, v0
	s_load_b64 s[6:7], s[6:7], 0x18
	s_waitcnt lgkmcnt(0)
	s_mul_i32 s7, s16, s13
	s_mul_hi_u32 s9, s16, s12
	s_mul_i32 s11, s16, s12
	v_lshrrev_b32_e32 v44, 16, v1
	s_add_i32 s9, s9, s7
	s_sub_u32 s7, s10, s11
	s_mul_i32 s12, s20, s18
	s_mul_i32 s10, s7, 9
	v_mul_lo_u16 v1, v44, 9
	s_subb_u32 s9, 0, s9
	s_mul_i32 s11, s14, s10
	s_mul_hi_u32 s7, s7, 9
	s_mul_i32 s9, s9, 9
	v_sub_nc_u16 v1, v0, v1
	s_add_u32 s11, s12, s11
	s_add_i32 s7, s7, s9
	s_delay_alu instid0(VALU_DEP_1) | instskip(SKIP_1) | instid1(SALU_CYCLE_1)
	v_dual_mov_b32 v4, 0 :: v_dual_and_b32 v25, 0xffff, v1
	s_mul_i32 s6, s6, s22
	s_add_u32 s9, s6, s11
	s_add_u32 s6, s10, 9
	s_delay_alu instid0(VALU_DEP_1) | instskip(SKIP_1) | instid1(VALU_DEP_1)
	v_mad_u64_u32 v[37:38], null, s14, v25, 0
	v_add_co_u32 v39, s10, s10, v25
	v_add_co_ci_u32_e64 v40, null, s7, 0, s10
	s_addc_u32 s7, s7, 0
	s_delay_alu instid0(SALU_CYCLE_1) | instskip(NEXT) | instid1(VALU_DEP_4)
	v_cmp_le_u64_e64 s6, s[6:7], s[2:3]
	v_mov_b32_e32 v1, v38
	s_delay_alu instid0(VALU_DEP_3) | instskip(NEXT) | instid1(VALU_DEP_2)
	v_cmp_gt_u64_e32 vcc_lo, s[2:3], v[39:40]
	v_mad_u64_u32 v[2:3], null, s15, v25, v[1:2]
	v_dual_mov_b32 v2, 0 :: v_dual_mov_b32 v1, 0
	s_or_b32 s3, s6, vcc_lo
	s_delay_alu instid0(SALU_CYCLE_1)
	s_and_saveexec_b32 s2, s3
	s_cbranch_execz .LBB0_8
; %bb.7:
	v_mul_lo_u32 v1, s8, v44
	v_mov_b32_e32 v2, 0
	s_delay_alu instid0(VALU_DEP_2) | instskip(NEXT) | instid1(VALU_DEP_1)
	v_add3_u32 v1, s9, v37, v1
	v_lshlrev_b64 v[1:2], 3, v[1:2]
	s_delay_alu instid0(VALU_DEP_1) | instskip(NEXT) | instid1(VALU_DEP_2)
	v_add_co_u32 v1, vcc_lo, s4, v1
	v_add_co_ci_u32_e32 v2, vcc_lo, s5, v2, vcc_lo
	global_load_b64 v[1:2], v[1:2], off
.LBB0_8:
	s_or_b32 exec_lo, exec_lo, s2
	v_dual_mov_b32 v3, 0 :: v_dual_add_nc_u32 v38, 0x78, v44
	s_and_saveexec_b32 s2, s3
	s_cbranch_execz .LBB0_10
; %bb.9:
	s_delay_alu instid0(VALU_DEP_1) | instskip(SKIP_1) | instid1(VALU_DEP_2)
	v_mul_lo_u32 v3, s8, v38
	v_mov_b32_e32 v4, 0
	v_add3_u32 v3, s9, v37, v3
	s_delay_alu instid0(VALU_DEP_1) | instskip(NEXT) | instid1(VALU_DEP_1)
	v_lshlrev_b64 v[3:4], 3, v[3:4]
	v_add_co_u32 v3, vcc_lo, s4, v3
	s_delay_alu instid0(VALU_DEP_2)
	v_add_co_ci_u32_e32 v4, vcc_lo, s5, v4, vcc_lo
	global_load_b64 v[3:4], v[3:4], off
.LBB0_10:
	s_or_b32 exec_lo, exec_lo, s2
	v_dual_mov_b32 v8, 0 :: v_dual_add_nc_u32 v45, 20, v44
	v_dual_mov_b32 v6, 0 :: v_dual_mov_b32 v5, 0
	s_and_saveexec_b32 s2, s3
	s_cbranch_execz .LBB0_12
; %bb.11:
	s_delay_alu instid0(VALU_DEP_2) | instskip(SKIP_1) | instid1(VALU_DEP_2)
	v_mul_lo_u32 v5, s8, v45
	v_mov_b32_e32 v6, 0
	v_add3_u32 v5, s9, v37, v5
	s_delay_alu instid0(VALU_DEP_1) | instskip(NEXT) | instid1(VALU_DEP_1)
	v_lshlrev_b64 v[5:6], 3, v[5:6]
	v_add_co_u32 v5, vcc_lo, s4, v5
	s_delay_alu instid0(VALU_DEP_2)
	v_add_co_ci_u32_e32 v6, vcc_lo, s5, v6, vcc_lo
	global_load_b64 v[5:6], v[5:6], off
.LBB0_12:
	s_or_b32 exec_lo, exec_lo, s2
	v_mov_b32_e32 v7, 0
	s_and_saveexec_b32 s2, s3
	s_cbranch_execz .LBB0_14
; %bb.13:
	v_dual_mov_b32 v8, 0 :: v_dual_add_nc_u32 v7, 0x8c, v44
	s_delay_alu instid0(VALU_DEP_1) | instskip(NEXT) | instid1(VALU_DEP_1)
	v_mul_lo_u32 v7, s8, v7
	v_add3_u32 v7, s9, v37, v7
	s_delay_alu instid0(VALU_DEP_1) | instskip(NEXT) | instid1(VALU_DEP_1)
	v_lshlrev_b64 v[7:8], 3, v[7:8]
	v_add_co_u32 v7, vcc_lo, s4, v7
	s_delay_alu instid0(VALU_DEP_2)
	v_add_co_ci_u32_e32 v8, vcc_lo, s5, v8, vcc_lo
	global_load_b64 v[7:8], v[7:8], off
.LBB0_14:
	s_or_b32 exec_lo, exec_lo, s2
	v_dual_mov_b32 v12, 0 :: v_dual_add_nc_u32 v47, 40, v44
	v_dual_mov_b32 v10, 0 :: v_dual_mov_b32 v9, 0
	s_and_saveexec_b32 s2, s3
	s_cbranch_execz .LBB0_16
; %bb.15:
	s_delay_alu instid0(VALU_DEP_2) | instskip(SKIP_1) | instid1(VALU_DEP_2)
	v_mul_lo_u32 v9, s8, v47
	v_mov_b32_e32 v10, 0
	v_add3_u32 v9, s9, v37, v9
	s_delay_alu instid0(VALU_DEP_1) | instskip(NEXT) | instid1(VALU_DEP_1)
	v_lshlrev_b64 v[9:10], 3, v[9:10]
	v_add_co_u32 v9, vcc_lo, s4, v9
	s_delay_alu instid0(VALU_DEP_2)
	v_add_co_ci_u32_e32 v10, vcc_lo, s5, v10, vcc_lo
	global_load_b64 v[9:10], v[9:10], off
.LBB0_16:
	s_or_b32 exec_lo, exec_lo, s2
	v_mov_b32_e32 v11, 0
	s_and_saveexec_b32 s2, s3
	s_cbranch_execz .LBB0_18
; %bb.17:
	v_or_b32_e32 v11, 0xa0, v44
	v_mov_b32_e32 v12, 0
	s_delay_alu instid0(VALU_DEP_2) | instskip(NEXT) | instid1(VALU_DEP_1)
	v_mul_lo_u32 v11, s8, v11
	v_add3_u32 v11, s9, v37, v11
	s_delay_alu instid0(VALU_DEP_1) | instskip(NEXT) | instid1(VALU_DEP_1)
	v_lshlrev_b64 v[11:12], 3, v[11:12]
	v_add_co_u32 v11, vcc_lo, s4, v11
	s_delay_alu instid0(VALU_DEP_2)
	v_add_co_ci_u32_e32 v12, vcc_lo, s5, v12, vcc_lo
	global_load_b64 v[11:12], v[11:12], off
.LBB0_18:
	s_or_b32 exec_lo, exec_lo, s2
	v_dual_mov_b32 v13, 0 :: v_dual_add_nc_u32 v48, 60, v44
	v_mov_b32_e32 v16, 0
	v_mov_b32_e32 v14, 0
	s_and_saveexec_b32 s2, s3
	s_cbranch_execz .LBB0_20
; %bb.19:
	v_mul_lo_u32 v13, s8, v48
	v_mov_b32_e32 v14, 0
	s_delay_alu instid0(VALU_DEP_2) | instskip(NEXT) | instid1(VALU_DEP_1)
	v_add3_u32 v13, s9, v37, v13
	v_lshlrev_b64 v[13:14], 3, v[13:14]
	s_delay_alu instid0(VALU_DEP_1) | instskip(NEXT) | instid1(VALU_DEP_2)
	v_add_co_u32 v13, vcc_lo, s4, v13
	v_add_co_ci_u32_e32 v14, vcc_lo, s5, v14, vcc_lo
	global_load_b64 v[13:14], v[13:14], off
.LBB0_20:
	s_or_b32 exec_lo, exec_lo, s2
	v_mov_b32_e32 v15, 0
	s_and_saveexec_b32 s2, s3
	s_cbranch_execz .LBB0_22
; %bb.21:
	v_dual_mov_b32 v16, 0 :: v_dual_add_nc_u32 v15, 0xb4, v44
	s_delay_alu instid0(VALU_DEP_1) | instskip(NEXT) | instid1(VALU_DEP_1)
	v_mul_lo_u32 v15, s8, v15
	v_add3_u32 v15, s9, v37, v15
	s_delay_alu instid0(VALU_DEP_1) | instskip(NEXT) | instid1(VALU_DEP_1)
	v_lshlrev_b64 v[15:16], 3, v[15:16]
	v_add_co_u32 v15, vcc_lo, s4, v15
	s_delay_alu instid0(VALU_DEP_2)
	v_add_co_ci_u32_e32 v16, vcc_lo, s5, v16, vcc_lo
	global_load_b64 v[15:16], v[15:16], off
.LBB0_22:
	s_or_b32 exec_lo, exec_lo, s2
	v_dual_mov_b32 v20, 0 :: v_dual_add_nc_u32 v49, 0x50, v44
	v_dual_mov_b32 v18, 0 :: v_dual_mov_b32 v17, 0
	s_and_saveexec_b32 s2, s3
	s_cbranch_execz .LBB0_24
; %bb.23:
	s_delay_alu instid0(VALU_DEP_2) | instskip(SKIP_1) | instid1(VALU_DEP_2)
	v_mul_lo_u32 v17, s8, v49
	v_mov_b32_e32 v18, 0
	v_add3_u32 v17, s9, v37, v17
	s_delay_alu instid0(VALU_DEP_1) | instskip(NEXT) | instid1(VALU_DEP_1)
	v_lshlrev_b64 v[17:18], 3, v[17:18]
	v_add_co_u32 v17, vcc_lo, s4, v17
	s_delay_alu instid0(VALU_DEP_2)
	v_add_co_ci_u32_e32 v18, vcc_lo, s5, v18, vcc_lo
	global_load_b64 v[17:18], v[17:18], off
.LBB0_24:
	s_or_b32 exec_lo, exec_lo, s2
	v_mov_b32_e32 v19, 0
	s_and_saveexec_b32 s2, s3
	s_cbranch_execz .LBB0_26
; %bb.25:
	v_dual_mov_b32 v20, 0 :: v_dual_add_nc_u32 v19, 0xc8, v44
	s_delay_alu instid0(VALU_DEP_1) | instskip(NEXT) | instid1(VALU_DEP_1)
	v_mul_lo_u32 v19, s8, v19
	v_add3_u32 v19, s9, v37, v19
	s_delay_alu instid0(VALU_DEP_1) | instskip(NEXT) | instid1(VALU_DEP_1)
	v_lshlrev_b64 v[19:20], 3, v[19:20]
	v_add_co_u32 v19, vcc_lo, s4, v19
	s_delay_alu instid0(VALU_DEP_2)
	v_add_co_ci_u32_e32 v20, vcc_lo, s5, v20, vcc_lo
	global_load_b64 v[19:20], v[19:20], off
.LBB0_26:
	s_or_b32 exec_lo, exec_lo, s2
	s_load_b64 s[6:7], s[0:1], 0x0
	v_dual_mov_b32 v21, 0 :: v_dual_add_nc_u32 v46, 0x64, v44
	v_mov_b32_e32 v24, 0
	v_mov_b32_e32 v22, 0
	s_and_saveexec_b32 s2, s3
	s_cbranch_execz .LBB0_28
; %bb.27:
	v_mul_lo_u32 v21, s8, v46
	v_mov_b32_e32 v22, 0
	s_delay_alu instid0(VALU_DEP_2) | instskip(NEXT) | instid1(VALU_DEP_1)
	v_add3_u32 v21, s9, v37, v21
	v_lshlrev_b64 v[21:22], 3, v[21:22]
	s_delay_alu instid0(VALU_DEP_1) | instskip(NEXT) | instid1(VALU_DEP_2)
	v_add_co_u32 v21, vcc_lo, s4, v21
	v_add_co_ci_u32_e32 v22, vcc_lo, s5, v22, vcc_lo
	global_load_b64 v[21:22], v[21:22], off
.LBB0_28:
	s_or_b32 exec_lo, exec_lo, s2
	v_mov_b32_e32 v23, 0
	s_and_saveexec_b32 s2, s3
	s_cbranch_execz .LBB0_30
; %bb.29:
	v_dual_mov_b32 v24, 0 :: v_dual_add_nc_u32 v23, 0xdc, v44
	s_delay_alu instid0(VALU_DEP_1) | instskip(NEXT) | instid1(VALU_DEP_1)
	v_mul_lo_u32 v23, s8, v23
	v_add3_u32 v23, s9, v37, v23
	s_delay_alu instid0(VALU_DEP_1) | instskip(NEXT) | instid1(VALU_DEP_1)
	v_lshlrev_b64 v[23:24], 3, v[23:24]
	v_add_co_u32 v23, vcc_lo, s4, v23
	s_delay_alu instid0(VALU_DEP_2)
	v_add_co_ci_u32_e32 v24, vcc_lo, s5, v24, vcc_lo
	global_load_b64 v[23:24], v[23:24], off
.LBB0_30:
	s_or_b32 exec_lo, exec_lo, s2
	v_mul_u32_u24_e32 v26, 0x90, v44
	s_waitcnt vmcnt(0)
	v_dual_sub_f32 v20, v18, v20 :: v_dual_lshlrev_b32 v53, 3, v25
	v_dual_sub_f32 v3, v1, v3 :: v_dual_sub_f32 v4, v2, v4
	v_dual_sub_f32 v7, v5, v7 :: v_dual_sub_f32 v8, v6, v8
	s_delay_alu instid0(VALU_DEP_3) | instskip(SKIP_1) | instid1(VALU_DEP_4)
	v_add3_u32 v25, 0, v26, v53
	v_dual_sub_f32 v11, v9, v11 :: v_dual_sub_f32 v12, v10, v12
	v_fma_f32 v1, v1, 2.0, -v3
	v_fma_f32 v2, v2, 2.0, -v4
	v_dual_sub_f32 v15, v13, v15 :: v_dual_sub_f32 v16, v14, v16
	v_fma_f32 v5, v5, 2.0, -v7
	v_fma_f32 v6, v6, 2.0, -v8
	v_dual_sub_f32 v19, v17, v19 :: v_dual_sub_f32 v24, v22, v24
	v_dual_sub_f32 v23, v21, v23 :: v_dual_add_nc_u32 v26, 0x800, v25
	v_fma_f32 v9, v9, 2.0, -v11
	v_fma_f32 v10, v10, 2.0, -v12
	v_add_nc_u32_e32 v27, 0x1000, v25
	v_fma_f32 v13, v13, 2.0, -v15
	v_fma_f32 v14, v14, 2.0, -v16
	ds_store_2addr_b64 v25, v[1:2], v[3:4] offset1:9
	ds_store_2addr_b64 v26, v[5:6], v[7:8] offset0:104 offset1:113
	ds_store_2addr_b64 v27, v[9:10], v[11:12] offset0:208 offset1:217
	v_add_nc_u32_e32 v1, 0x2000, v25
	v_and_b32_e32 v7, 1, v44
	v_fma_f32 v17, v17, 2.0, -v19
	v_fma_f32 v18, v18, 2.0, -v20
	v_add_nc_u32_e32 v2, 0x2c00, v25
	v_fma_f32 v21, v21, 2.0, -v23
	v_fma_f32 v22, v22, 2.0, -v24
	v_add_nc_u32_e32 v3, 0x3800, v25
	ds_store_b64 v25, v[13:14] offset:8640
	ds_store_2addr_b32 v1, v15, v16 offset0:130 offset1:131
	ds_store_2addr_b32 v2, v17, v18 offset0:64 offset1:65
	ds_store_2addr_b32 v2, v19, v20 offset0:82 offset1:83
	ds_store_2addr_b32 v3, v21, v22 offset0:16 offset1:17
	v_lshlrev_b32_e32 v1, 4, v7
	v_lshrrev_b32_e32 v2, 1, v44
	ds_store_2addr_b32 v3, v23, v24 offset0:34 offset1:35
	s_waitcnt lgkmcnt(0)
	s_barrier
	buffer_gl0_inv
	global_load_b128 v[3:6], v1, s[6:7]
	v_mul_u32_u24_e32 v1, 0x48, v44
	v_lshrrev_b32_e32 v8, 1, v45
	v_lshrrev_b32_e32 v9, 1, v47
	;; [unrolled: 1-line block ×3, first 2 shown]
	v_cmp_gt_u32_e32 vcc_lo, 36, v0
	v_add3_u32 v50, 0, v1, v53
	v_mul_u32_u24_e32 v1, 6, v2
	v_mul_u32_u24_e32 v2, 6, v8
	;; [unrolled: 1-line block ×4, first 2 shown]
	v_add_nc_u32_e32 v10, 0x2d00, v25
	v_add_nc_u32_e32 v11, 0x2600, v50
	;; [unrolled: 1-line block ×4, first 2 shown]
	v_or_b32_e32 v1, v1, v7
	v_mad_i32_i24 v52, 0xffffffb8, v49, v10
	v_or_b32_e32 v2, v2, v7
	v_or_b32_e32 v25, v8, v7
	;; [unrolled: 1-line block ×3, first 2 shown]
	ds_load_2addr_b64 v[7:10], v11 offset0:44 offset1:224
	ds_load_2addr_b64 v[11:14], v12 offset0:4 offset1:184
	;; [unrolled: 1-line block ×3, first 2 shown]
	ds_load_b64 v[19:20], v52
	ds_load_b64 v[21:22], v50
	ds_load_b64 v[23:24], v50 offset:15840
	v_mul_u32_u24_e32 v1, 0x48, v1
	v_add_nc_u32_e32 v51, 0xffffef20, v52
	v_mul_u32_u24_e32 v2, 0x48, v2
	v_mul_u32_u24_e32 v25, 0x48, v25
	v_mul_u32_u24_e32 v26, 0x48, v26
	v_add3_u32 v31, 0, v1, v53
	v_add_nc_u32_e32 v30, 0x1a00, v50
	v_add3_u32 v32, 0, v2, v53
	v_add3_u32 v33, 0, v25, v53
	;; [unrolled: 1-line block ×3, first 2 shown]
	s_waitcnt vmcnt(0) lgkmcnt(4)
	v_dual_mul_f32 v59, v4, v13 :: v_dual_add_nc_u32 v42, 0x2800, v50
	s_waitcnt lgkmcnt(3)
	v_dual_mul_f32 v60, v6, v18 :: v_dual_add_nc_u32 v1, 0x400, v51
	v_dual_mul_f32 v61, v6, v17 :: v_dual_add_nc_u32 v2, 0x800, v51
	v_mul_f32_e32 v40, v6, v10
	v_mul_f32_e32 v41, v6, v9
	;; [unrolled: 1-line block ×4, first 2 shown]
	s_waitcnt lgkmcnt(0)
	v_mul_f32_e32 v63, v24, v6
	v_mul_f32_e32 v6, v23, v6
	ds_load_2addr_b32 v[25:26], v51 offset1:1
	ds_load_2addr_b32 v[27:28], v1 offset0:104 offset1:105
	ds_load_2addr_b32 v[1:2], v2 offset0:208 offset1:209
	v_dual_fmac_f32 v56, v5, v15 :: v_dual_mul_f32 v35, v4, v20
	v_mul_f32_e32 v36, v4, v19
	v_mul_f32_e32 v54, v4, v12
	;; [unrolled: 1-line block ×4, first 2 shown]
	v_dual_fmac_f32 v40, v5, v9 :: v_dual_add_nc_u32 v29, 0xd00, v50
	v_mul_f32_e32 v62, v4, v8
	v_mul_f32_e32 v4, v4, v7
	v_dual_fmac_f32 v35, v3, v19 :: v_dual_fmac_f32 v60, v5, v17
	v_fma_f32 v19, v3, v20, -v36
	v_fma_f32 v9, v5, v10, -v41
	v_dual_fmac_f32 v54, v3, v11 :: v_dual_add_nc_u32 v43, 0x3600, v50
	v_fma_f32 v10, v3, v12, -v55
	v_fma_f32 v11, v5, v16, -v57
	v_fmac_f32_e32 v58, v3, v13
	v_fma_f32 v12, v3, v14, -v59
	v_add_f32_e32 v17, v54, v56
	v_fma_f32 v13, v5, v18, -v61
	v_fmac_f32_e32 v62, v3, v7
	v_fma_f32 v3, v3, v8, -v4
	v_dual_fmac_f32 v63, v23, v5 :: v_dual_add_f32 v4, v21, v35
	v_fma_f32 v14, v24, v5, -v6
	v_dual_add_f32 v5, v35, v40 :: v_dual_add_f32 v6, v22, v19
	v_dual_add_f32 v7, v19, v9 :: v_dual_sub_f32 v18, v10, v11
	s_waitcnt lgkmcnt(2)
	v_dual_sub_f32 v15, v19, v9 :: v_dual_add_f32 v8, v25, v54
	v_add_f32_e32 v19, v26, v10
	s_waitcnt lgkmcnt(1)
	v_dual_add_f32 v10, v10, v11 :: v_dual_add_f32 v23, v27, v58
	v_dual_sub_f32 v16, v35, v40 :: v_dual_sub_f32 v35, v12, v13
	v_dual_add_f32 v24, v58, v60 :: v_dual_add_f32 v59, v3, v14
	v_dual_add_f32 v36, v28, v12 :: v_dual_add_f32 v55, v62, v63
	v_dual_add_f32 v12, v12, v13 :: v_dual_sub_f32 v41, v58, v60
	v_fma_f32 v21, -0.5, v5, v21
	v_dual_fmac_f32 v22, -0.5, v7 :: v_dual_add_f32 v7, v23, v60
	v_dual_sub_f32 v20, v54, v56 :: v_dual_sub_f32 v57, v3, v14
	s_waitcnt lgkmcnt(0)
	v_dual_add_f32 v54, v1, v62 :: v_dual_sub_f32 v61, v62, v63
	v_dual_add_f32 v58, v2, v3 :: v_dual_add_f32 v3, v4, v40
	v_fma_f32 v25, -0.5, v17, v25
	v_fmac_f32_e32 v26, -0.5, v10
	v_fma_f32 v27, -0.5, v24, v27
	v_fmac_f32_e32 v28, -0.5, v12
	v_dual_add_f32 v4, v6, v9 :: v_dual_add_f32 v5, v8, v56
	v_add_f32_e32 v6, v19, v11
	v_dual_add_f32 v8, v36, v13 :: v_dual_fmamk_f32 v11, v15, 0xbf5db3d7, v21
	v_fma_f32 v1, -0.5, v55, v1
	v_fmac_f32_e32 v2, -0.5, v59
	v_dual_fmamk_f32 v12, v16, 0x3f5db3d7, v22 :: v_dual_fmac_f32 v21, 0x3f5db3d7, v15
	v_dual_fmac_f32 v22, 0xbf5db3d7, v16 :: v_dual_add_f32 v9, v54, v63
	v_dual_add_f32 v10, v58, v14 :: v_dual_fmamk_f32 v15, v35, 0xbf5db3d7, v27
	v_fmamk_f32 v13, v18, 0xbf5db3d7, v25
	v_dual_fmamk_f32 v14, v20, 0x3f5db3d7, v26 :: v_dual_fmac_f32 v25, 0x3f5db3d7, v18
	v_fmac_f32_e32 v26, 0xbf5db3d7, v20
	v_dual_fmac_f32 v27, 0x3f5db3d7, v35 :: v_dual_fmamk_f32 v16, v41, 0x3f5db3d7, v28
	v_fmac_f32_e32 v28, 0xbf5db3d7, v41
	s_barrier
	buffer_gl0_inv
	v_fmamk_f32 v40, v57, 0xbf5db3d7, v1
	v_fmac_f32_e32 v1, 0x3f5db3d7, v57
	v_fmamk_f32 v41, v61, 0x3f5db3d7, v2
	v_fmac_f32_e32 v2, 0xbf5db3d7, v61
	ds_store_2addr_b64 v31, v[3:4], v[11:12] offset1:18
	ds_store_b64 v31, v[21:22] offset:288
	ds_store_2addr_b64 v32, v[5:6], v[13:14] offset1:18
	ds_store_b64 v32, v[25:26] offset:288
	;; [unrolled: 2-line block ×4, first 2 shown]
	s_waitcnt lgkmcnt(0)
	s_barrier
	buffer_gl0_inv
	ds_load_2addr_b64 v[17:20], v50 offset1:216
	ds_load_2addr_b64 v[33:36], v29 offset0:16 offset1:232
	ds_load_2addr_b64 v[29:32], v30 offset0:32 offset1:248
	;; [unrolled: 1-line block ×3, first 2 shown]
	ds_load_2addr_b64 v[21:24], v43 offset1:216
                                        ; implicit-def: $vgpr43
                                        ; implicit-def: $vgpr8
                                        ; implicit-def: $vgpr12
                                        ; implicit-def: $vgpr16
	s_and_saveexec_b32 s2, vcc_lo
	s_cbranch_execz .LBB0_32
; %bb.31:
	v_add_nc_u32_e32 v1, 0xc00, v50
	v_add_nc_u32_e32 v5, 0x1900, v50
	;; [unrolled: 1-line block ×4, first 2 shown]
	ds_load_2addr_b32 v[40:41], v51 offset1:1
	ds_load_2addr_b64 v[1:4], v1 offset0:12 offset1:228
	ds_load_2addr_b64 v[13:16], v5 offset0:28 offset1:244
	;; [unrolled: 1-line block ×4, first 2 shown]
	ds_load_b64 v[42:43], v50 offset:16992
.LBB0_32:
	s_or_b32 exec_lo, exec_lo, s2
	v_mul_lo_u16 v54, v44, 43
	s_delay_alu instid0(VALU_DEP_1) | instskip(NEXT) | instid1(VALU_DEP_1)
	v_lshrrev_b16 v54, 8, v54
	v_mul_lo_u16 v55, v54, 6
	s_delay_alu instid0(VALU_DEP_1) | instskip(NEXT) | instid1(VALU_DEP_1)
	v_sub_nc_u16 v55, v44, v55
	v_and_b32_e32 v55, 0xff, v55
	s_delay_alu instid0(VALU_DEP_1) | instskip(NEXT) | instid1(VALU_DEP_1)
	v_mul_u32_u24_e32 v56, 9, v55
	v_lshlrev_b32_e32 v72, 3, v56
	s_clause 0x4
	global_load_b128 v[56:59], v72, s[6:7] offset:32
	global_load_b128 v[60:63], v72, s[6:7] offset:48
	global_load_b128 v[64:67], v72, s[6:7] offset:64
	global_load_b128 v[68:71], v72, s[6:7] offset:80
	global_load_b64 v[72:73], v72, s[6:7] offset:96
	v_and_b32_e32 v54, 0xffff, v54
	s_waitcnt vmcnt(0) lgkmcnt(0)
	s_barrier
	buffer_gl0_inv
	v_dual_mul_f32 v77, v57, v20 :: v_dual_mul_f32 v78, v59, v34
	v_mad_u32_u24 v54, v54, 60, v55
	v_dual_mul_f32 v81, v65, v32 :: v_dual_mul_f32 v84, v71, v22
	v_mul_f32_e32 v59, v59, v33
	v_mul_f32_e32 v57, v57, v19
	s_delay_alu instid0(VALU_DEP_4) | instskip(SKIP_3) | instid1(VALU_DEP_4)
	v_mul_u32_u24_e32 v55, 0x48, v54
	v_add_nc_u32_e32 v54, 0x5a0, v51
	v_dual_fmac_f32 v77, v56, v19 :: v_dual_mul_f32 v80, v63, v30
	v_mul_f32_e32 v65, v65, v31
	v_add3_u32 v74, 0, v55, v53
	v_add_nc_u32_e32 v55, 0xb40, v51
	v_fma_f32 v19, v58, v34, -v59
	v_mul_f32_e32 v79, v61, v36
	v_dual_mul_f32 v61, v61, v35 :: v_dual_mul_f32 v82, v67, v26
	v_add_nc_u32_e32 v76, 0x800, v74
	v_dual_fmac_f32 v78, v58, v33 :: v_dual_add_nc_u32 v75, 0x400, v74
	s_delay_alu instid0(VALU_DEP_3)
	v_dual_mul_f32 v83, v69, v28 :: v_dual_fmac_f32 v82, v66, v25
	v_dual_mul_f32 v69, v69, v27 :: v_dual_fmac_f32 v84, v70, v21
	v_mul_f32_e32 v67, v67, v25
	v_mul_f32_e32 v85, v24, v73
	;; [unrolled: 1-line block ×3, first 2 shown]
	v_fmac_f32_e32 v80, v62, v29
	v_dual_sub_f32 v58, v78, v84 :: v_dual_mul_f32 v63, v63, v29
	v_mul_f32_e32 v71, v71, v21
	v_fma_f32 v56, v56, v20, -v57
	s_delay_alu instid0(VALU_DEP_4)
	v_sub_f32_e32 v34, v80, v78
	v_fma_f32 v20, v60, v36, -v61
	v_add_f32_e32 v36, v18, v19
	v_fma_f32 v21, v70, v22, -v71
	v_fmac_f32_e32 v81, v64, v31
	v_fma_f32 v22, v24, v72, -v73
	v_add_f32_e32 v24, v80, v82
	v_fma_f32 v29, v62, v30, -v63
	v_dual_add_f32 v62, v19, v21 :: v_dual_fmac_f32 v79, v60, v35
	v_fma_f32 v30, v64, v32, -v65
	v_sub_f32_e32 v32, v84, v82
	s_delay_alu instid0(VALU_DEP_4)
	v_sub_f32_e32 v60, v19, v29
	v_fma_f32 v25, v66, v26, -v67
	v_fmac_f32_e32 v83, v68, v27
	v_fma_f32 v26, v68, v28, -v69
	v_sub_f32_e32 v68, v79, v81
	v_dual_sub_f32 v27, v19, v21 :: v_dual_sub_f32 v66, v20, v22
	v_dual_sub_f32 v28, v29, v25 :: v_dual_fmac_f32 v85, v23, v72
	v_add_f32_e32 v64, v77, v79
	v_add_f32_e32 v23, v17, v78
	v_sub_f32_e32 v31, v78, v80
	v_add_f32_e32 v57, v29, v25
	v_dual_add_f32 v33, v78, v84 :: v_dual_sub_f32 v86, v81, v83
	v_sub_f32_e32 v59, v80, v82
	v_dual_sub_f32 v61, v21, v25 :: v_dual_sub_f32 v88, v22, v26
	v_dual_sub_f32 v19, v29, v19 :: v_dual_sub_f32 v90, v26, v22
	v_add_f32_e32 v70, v79, v85
	v_sub_f32_e32 v72, v83, v85
	v_dual_sub_f32 v63, v25, v21 :: v_dual_add_f32 v78, v30, v26
	v_add_f32_e32 v29, v36, v29
	v_fma_f32 v36, -0.5, v57, v18
	v_add_f32_e32 v23, v23, v80
	v_fma_f32 v80, -0.5, v24, v17
	v_add_f32_e32 v73, v56, v20
	v_add_f32_e32 v24, v31, v32
	v_sub_f32_e32 v35, v82, v84
	v_sub_f32_e32 v67, v30, v26
	;; [unrolled: 1-line block ×3, first 2 shown]
	v_fma_f32 v32, -0.5, v33, v17
	v_sub_f32_e32 v71, v81, v79
	v_add_f32_e32 v17, v34, v35
	v_fma_f32 v34, -0.5, v62, v18
	v_add_f32_e32 v89, v20, v22
	v_dual_add_f32 v65, v81, v83 :: v_dual_sub_f32 v20, v30, v20
	v_fmamk_f32 v62, v27, 0xbf737871, v80
	v_dual_fmac_f32 v80, 0x3f737871, v27 :: v_dual_sub_f32 v79, v79, v85
	v_dual_add_f32 v30, v73, v30 :: v_dual_add_f32 v31, v60, v61
	v_fma_f32 v60, -0.5, v78, v56
	v_dual_sub_f32 v69, v85, v83 :: v_dual_add_f32 v20, v20, v90
	v_dual_add_f32 v18, v19, v63 :: v_dual_add_f32 v19, v64, v81
	v_fmac_f32_e32 v56, -0.5, v89
	v_fma_f32 v33, -0.5, v65, v77
	v_dual_fmac_f32 v77, -0.5, v70 :: v_dual_fmac_f32 v62, 0xbf167918, v28
	v_fmamk_f32 v64, v58, 0x3f737871, v36
	v_fmac_f32_e32 v36, 0xbf737871, v58
	v_dual_add_f32 v26, v30, v26 :: v_dual_add_f32 v25, v29, v25
	v_dual_fmamk_f32 v30, v79, 0x3f737871, v60 :: v_dual_add_f32 v35, v68, v69
	s_delay_alu instid0(VALU_DEP_4)
	v_dual_add_f32 v61, v87, v88 :: v_dual_fmac_f32 v64, 0x3f167918, v59
	v_dual_add_f32 v23, v23, v82 :: v_dual_fmac_f32 v80, 0x3f167918, v28
	v_fmamk_f32 v68, v67, 0x3f737871, v77
	v_dual_fmac_f32 v36, 0xbf167918, v59 :: v_dual_add_f32 v21, v25, v21
	v_fmac_f32_e32 v30, 0x3f167918, v86
	v_dual_fmamk_f32 v63, v28, 0x3f737871, v32 :: v_dual_add_f32 v22, v26, v22
	v_fmac_f32_e32 v32, 0xbf737871, v28
	v_fmamk_f32 v65, v59, 0xbf737871, v34
	v_dual_add_f32 v23, v23, v84 :: v_dual_fmac_f32 v68, 0xbf167918, v66
	v_dual_fmac_f32 v30, 0x3e9e377a, v61 :: v_dual_add_f32 v57, v71, v72
	s_delay_alu instid0(VALU_DEP_4) | instskip(SKIP_2) | instid1(VALU_DEP_4)
	v_fmac_f32_e32 v32, 0x3f167918, v27
	v_fmac_f32_e32 v64, 0x3e9e377a, v31
	;; [unrolled: 1-line block ×3, first 2 shown]
	v_mul_f32_e32 v31, 0xbf167918, v30
	v_mul_f32_e32 v30, 0x3f4f1bbd, v30
	v_fmac_f32_e32 v65, 0x3f167918, v58
	v_fmac_f32_e32 v34, 0x3f737871, v59
	;; [unrolled: 1-line block ×3, first 2 shown]
	v_dual_add_f32 v19, v19, v83 :: v_dual_fmac_f32 v80, 0x3e9e377a, v24
	s_delay_alu instid0(VALU_DEP_4)
	v_fmac_f32_e32 v65, 0x3e9e377a, v18
	v_fmamk_f32 v69, v86, 0xbf737871, v56
	v_fmac_f32_e32 v56, 0x3f737871, v86
	v_fmamk_f32 v29, v66, 0xbf737871, v33
	v_dual_fmac_f32 v63, 0xbf167918, v27 :: v_dual_fmac_f32 v60, 0xbf167918, v86
	v_dual_fmac_f32 v34, 0xbf167918, v58 :: v_dual_add_f32 v19, v19, v85
	s_delay_alu instid0(VALU_DEP_4) | instskip(SKIP_4) | instid1(VALU_DEP_4)
	v_fmac_f32_e32 v56, 0xbf167918, v79
	v_fmac_f32_e32 v69, 0x3f167918, v79
	;; [unrolled: 1-line block ×4, first 2 shown]
	v_dual_fmac_f32 v62, 0x3e9e377a, v24 :: v_dual_fmac_f32 v63, 0x3e9e377a, v17
	v_fmac_f32_e32 v69, 0x3e9e377a, v20
	v_fmac_f32_e32 v56, 0x3e9e377a, v20
	v_dual_sub_f32 v20, v21, v22 :: v_dual_fmac_f32 v29, 0xbf167918, v67
	v_mul_f32_e32 v58, 0xbf167918, v60
	v_fmac_f32_e32 v32, 0x3e9e377a, v17
	v_fmac_f32_e32 v34, 0x3e9e377a, v18
	s_delay_alu instid0(VALU_DEP_4) | instskip(SKIP_3) | instid1(VALU_DEP_4)
	v_dual_add_f32 v18, v21, v22 :: v_dual_fmac_f32 v29, 0x3e9e377a, v35
	v_mul_f32_e32 v60, 0xbf4f1bbd, v60
	v_mul_f32_e32 v59, 0x3e9e377a, v69
	v_add_f32_e32 v17, v23, v19
	v_dual_sub_f32 v19, v23, v19 :: v_dual_fmac_f32 v30, 0x3f167918, v29
	v_fmac_f32_e32 v77, 0xbf737871, v67
	s_delay_alu instid0(VALU_DEP_2) | instskip(NEXT) | instid1(VALU_DEP_1)
	v_dual_fmac_f32 v59, 0x3f737871, v68 :: v_dual_add_f32 v22, v64, v30
	v_dual_fmac_f32 v77, 0x3f167918, v66 :: v_dual_add_f32 v24, v65, v59
	s_delay_alu instid0(VALU_DEP_1) | instskip(SKIP_2) | instid1(VALU_DEP_2)
	v_fmac_f32_e32 v77, 0x3e9e377a, v57
	v_mul_f32_e32 v57, 0xbf737871, v56
	v_mul_f32_e32 v56, 0xbe9e377a, v56
	v_dual_sub_f32 v30, v64, v30 :: v_dual_fmac_f32 v57, 0xbe9e377a, v77
	s_delay_alu instid0(VALU_DEP_2) | instskip(NEXT) | instid1(VALU_DEP_1)
	v_dual_fmac_f32 v33, 0x3f737871, v66 :: v_dual_fmac_f32 v56, 0x3f737871, v77
	v_dual_fmac_f32 v33, 0x3f167918, v67 :: v_dual_add_f32 v26, v34, v56
	s_delay_alu instid0(VALU_DEP_1) | instskip(SKIP_2) | instid1(VALU_DEP_3)
	v_fmac_f32_e32 v33, 0x3e9e377a, v35
	v_mul_f32_e32 v35, 0xbf737871, v69
	v_dual_add_f32 v25, v32, v57 :: v_dual_sub_f32 v34, v34, v56
	v_fmac_f32_e32 v60, 0x3f167918, v33
	s_delay_alu instid0(VALU_DEP_3) | instskip(SKIP_3) | instid1(VALU_DEP_4)
	v_fmac_f32_e32 v35, 0x3e9e377a, v68
	v_fmac_f32_e32 v58, 0xbf4f1bbd, v33
	v_dual_sub_f32 v33, v32, v57 :: v_dual_sub_f32 v32, v65, v59
	v_fmac_f32_e32 v31, 0x3f4f1bbd, v29
	v_add_f32_e32 v23, v63, v35
	s_delay_alu instid0(VALU_DEP_4) | instskip(SKIP_1) | instid1(VALU_DEP_4)
	v_add_f32_e32 v27, v80, v58
	v_add_f32_e32 v28, v36, v60
	v_dual_sub_f32 v36, v36, v60 :: v_dual_add_f32 v21, v62, v31
	v_sub_f32_e32 v29, v62, v31
	v_sub_f32_e32 v31, v63, v35
	;; [unrolled: 1-line block ×3, first 2 shown]
	ds_store_2addr_b64 v74, v[17:18], v[21:22] offset1:54
	ds_store_2addr_b64 v74, v[23:24], v[25:26] offset0:108 offset1:162
	ds_store_2addr_b64 v75, v[27:28], v[19:20] offset0:88 offset1:142
	ds_store_2addr_b64 v76, v[29:30], v[31:32] offset0:68 offset1:122
	ds_store_2addr_b64 v76, v[33:34], v[35:36] offset0:176 offset1:230
	s_and_saveexec_b32 s2, vcc_lo
	s_cbranch_execz .LBB0_34
; %bb.33:
	v_mul_lo_u16 v17, v45, 43
	s_delay_alu instid0(VALU_DEP_1) | instskip(NEXT) | instid1(VALU_DEP_1)
	v_lshrrev_b16 v17, 8, v17
	v_mul_lo_u16 v17, v17, 6
	s_delay_alu instid0(VALU_DEP_1) | instskip(NEXT) | instid1(VALU_DEP_1)
	v_sub_nc_u16 v17, v45, v17
	v_mul_lo_u16 v17, v17, 9
	s_delay_alu instid0(VALU_DEP_1) | instskip(NEXT) | instid1(VALU_DEP_1)
	v_and_b32_e32 v17, 0xff, v17
	v_lshlrev_b32_e32 v35, 3, v17
	s_clause 0x4
	global_load_b128 v[17:20], v35, s[6:7] offset:32
	global_load_b128 v[21:24], v35, s[6:7] offset:48
	;; [unrolled: 1-line block ×4, first 2 shown]
	global_load_b64 v[33:34], v35, s[6:7] offset:96
	s_waitcnt vmcnt(3)
	v_dual_mul_f32 v65, v2, v18 :: v_dual_mul_f32 v58, v15, v24
	v_mul_f32_e32 v24, v16, v24
	s_waitcnt vmcnt(1)
	v_mul_f32_e32 v60, v11, v32
	s_waitcnt vmcnt(0)
	v_mul_f32_e32 v63, v43, v34
	v_add3_u32 v35, 0, v35, v53
	v_mul_f32_e32 v32, v12, v32
	v_dual_mul_f32 v64, v6, v26 :: v_dual_fmac_f32 v65, v1, v17
	s_delay_alu instid0(VALU_DEP_3)
	v_dual_mul_f32 v57, v3, v20 :: v_dual_add_nc_u32 v36, 0x3000, v35
	v_dual_mul_f32 v59, v7, v28 :: v_dual_add_nc_u32 v56, 0x3800, v35
	;; [unrolled: 1-line block ×3, first 2 shown]
	v_dual_mul_f32 v28, v8, v28 :: v_dual_mul_f32 v61, v14, v22
	v_mul_f32_e32 v62, v10, v30
	v_fma_f32 v4, v4, v19, -v57
	v_fma_f32 v16, v16, v23, -v58
	v_dual_mul_f32 v22, v13, v22 :: v_dual_fmac_f32 v63, v42, v33
	v_fma_f32 v8, v8, v27, -v59
	v_fmac_f32_e32 v28, v7, v27
	v_fmac_f32_e32 v24, v15, v23
	;; [unrolled: 1-line block ×3, first 2 shown]
	v_mul_f32_e32 v18, v1, v18
	v_fmac_f32_e32 v61, v13, v21
	v_dual_fmac_f32 v64, v5, v25 :: v_dual_sub_f32 v27, v16, v4
	v_fmac_f32_e32 v62, v9, v29
	v_dual_mul_f32 v34, v42, v34 :: v_dual_sub_f32 v7, v4, v16
	v_fma_f32 v12, v12, v31, -v60
	v_dual_mul_f32 v30, v9, v30 :: v_dual_sub_f32 v13, v24, v32
	v_fma_f32 v2, v2, v17, -v18
	v_sub_f32_e32 v15, v63, v64
	s_delay_alu instid0(VALU_DEP_4) | instskip(SKIP_3) | instid1(VALU_DEP_4)
	v_dual_sub_f32 v9, v8, v12 :: v_dual_fmac_f32 v20, v3, v19
	v_dual_add_f32 v17, v62, v64 :: v_dual_mul_f32 v26, v5, v26
	v_fma_f32 v1, v14, v21, -v22
	v_fma_f32 v3, v43, v33, -v34
	v_sub_f32_e32 v11, v20, v28
	v_fma_f32 v5, v10, v29, -v30
	v_fma_f32 v6, v6, v25, -v26
	v_dual_add_f32 v10, v16, v12 :: v_dual_sub_f32 v25, v61, v63
	v_dual_sub_f32 v14, v61, v62 :: v_dual_sub_f32 v29, v12, v8
	v_dual_sub_f32 v18, v1, v3 :: v_dual_sub_f32 v31, v62, v61
	s_delay_alu instid0(VALU_DEP_4)
	v_sub_f32_e32 v19, v5, v6
	v_dual_sub_f32 v21, v1, v5 :: v_dual_sub_f32 v22, v3, v6
	v_sub_f32_e32 v33, v64, v63
	v_dual_add_f32 v23, v5, v6 :: v_dual_sub_f32 v26, v62, v64
	v_dual_add_f32 v57, v1, v3 :: v_dual_add_f32 v30, v4, v8
	v_sub_f32_e32 v43, v6, v3
	v_add_f32_e32 v34, v61, v63
	v_dual_sub_f32 v42, v5, v1 :: v_dual_sub_f32 v59, v20, v24
	v_dual_add_f32 v58, v41, v4 :: v_dual_add_f32 v7, v7, v9
	v_dual_add_f32 v1, v2, v1 :: v_dual_sub_f32 v60, v28, v32
	v_dual_add_f32 v61, v65, v61 :: v_dual_sub_f32 v68, v24, v20
	s_delay_alu instid0(VALU_DEP_2)
	v_dual_add_f32 v70, v20, v28 :: v_dual_add_f32 v1, v1, v5
	v_fma_f32 v71, -0.5, v10, v41
	v_add_f32_e32 v20, v40, v20
	v_dual_add_f32 v66, v24, v32 :: v_dual_add_f32 v9, v14, v15
	v_sub_f32_e32 v4, v4, v8
	v_dual_sub_f32 v67, v16, v12 :: v_dual_add_f32 v14, v21, v22
	v_dual_sub_f32 v69, v32, v28 :: v_dual_add_f32 v22, v31, v33
	v_fma_f32 v10, -0.5, v17, v65
	v_fma_f32 v15, -0.5, v23, v2
	v_add_f32_e32 v17, v27, v29
	v_fma_f32 v21, -0.5, v30, v41
	v_fma_f32 v23, -0.5, v34, v65
	v_fma_f32 v29, -0.5, v57, v2
	v_dual_add_f32 v2, v58, v16 :: v_dual_fmamk_f32 v33, v11, 0xbf737871, v71
	s_delay_alu instid0(VALU_DEP_4)
	v_dual_fmamk_f32 v41, v13, 0x3f737871, v21 :: v_dual_add_f32 v20, v20, v24
	v_dual_add_f32 v24, v61, v62 :: v_dual_fmac_f32 v21, 0xbf737871, v13
	v_add_f32_e32 v27, v42, v43
	v_fma_f32 v30, -0.5, v66, v40
	v_fma_f32 v31, -0.5, v70, v40
	v_fmamk_f32 v34, v18, 0x3f737871, v10
	v_dual_fmamk_f32 v42, v19, 0xbf737871, v23 :: v_dual_add_f32 v1, v1, v6
	v_fmamk_f32 v43, v26, 0x3f737871, v29
	v_dual_fmac_f32 v29, 0xbf737871, v26 :: v_dual_add_f32 v2, v2, v12
	v_dual_add_f32 v12, v24, v64 :: v_dual_fmac_f32 v33, 0xbf167918, v13
	v_fmamk_f32 v40, v25, 0xbf737871, v15
	v_fmac_f32_e32 v23, 0x3f737871, v19
	v_dual_fmac_f32 v71, 0x3f737871, v11 :: v_dual_add_f32 v6, v20, v32
	v_dual_fmac_f32 v15, 0x3f737871, v25 :: v_dual_add_f32 v8, v2, v8
	v_dual_fmac_f32 v34, 0x3f167918, v19 :: v_dual_fmac_f32 v29, 0x3f167918, v25
	v_fmac_f32_e32 v41, 0xbf167918, v11
	v_dual_fmac_f32 v42, 0x3f167918, v18 :: v_dual_fmac_f32 v21, 0x3f167918, v11
	v_dual_add_f32 v11, v12, v63 :: v_dual_fmac_f32 v40, 0xbf167918, v26
	v_fmac_f32_e32 v43, 0xbf167918, v25
	v_dual_add_f32 v5, v59, v60 :: v_dual_add_f32 v16, v68, v69
	v_dual_fmac_f32 v10, 0xbf737871, v18 :: v_dual_add_f32 v3, v1, v3
	v_dual_fmamk_f32 v57, v4, 0x3f737871, v30 :: v_dual_add_f32 v6, v6, v28
	v_fmamk_f32 v58, v67, 0xbf737871, v31
	s_delay_alu instid0(VALU_DEP_3) | instskip(NEXT) | instid1(VALU_DEP_4)
	v_dual_fmac_f32 v23, 0xbf167918, v18 :: v_dual_fmac_f32 v10, 0xbf167918, v19
	v_dual_fmac_f32 v15, 0x3f167918, v26 :: v_dual_sub_f32 v2, v8, v3
	v_dual_fmac_f32 v40, 0x3e9e377a, v14 :: v_dual_fmac_f32 v29, 0x3e9e377a, v27
	v_dual_fmac_f32 v33, 0x3e9e377a, v7 :: v_dual_fmac_f32 v34, 0x3e9e377a, v9
	;; [unrolled: 1-line block ×4, first 2 shown]
	v_fmac_f32_e32 v15, 0x3e9e377a, v14
	v_sub_f32_e32 v1, v6, v11
	v_dual_fmac_f32 v71, 0x3f167918, v13 :: v_dual_fmac_f32 v58, 0x3f167918, v4
	v_mul_f32_e32 v13, 0x3e9e377a, v29
	v_mul_f32_e32 v22, 0xbf167918, v40
	v_fmac_f32_e32 v30, 0xbf737871, v4
	v_fmac_f32_e32 v41, 0x3e9e377a, v17
	v_dual_fmac_f32 v21, 0x3e9e377a, v17 :: v_dual_fmac_f32 v58, 0x3e9e377a, v16
	v_fmac_f32_e32 v13, 0x3f737871, v23
	v_fmac_f32_e32 v31, 0x3f737871, v67
	;; [unrolled: 1-line block ×3, first 2 shown]
	v_dual_mul_f32 v7, 0xbf4f1bbd, v40 :: v_dual_fmac_f32 v22, 0xbf4f1bbd, v34
	v_mul_f32_e32 v26, 0xbf167918, v15
	v_dual_mul_f32 v17, 0x3f4f1bbd, v15 :: v_dual_add_f32 v18, v21, v13
	s_delay_alu instid0(VALU_DEP_2) | instskip(NEXT) | instid1(VALU_DEP_2)
	v_fmac_f32_e32 v26, 0x3f4f1bbd, v10
	v_dual_fmac_f32 v17, 0x3f167918, v10 :: v_dual_sub_f32 v10, v21, v13
	v_dual_fmac_f32 v31, 0xbf167918, v4 :: v_dual_add_f32 v4, v8, v3
	v_add_f32_e32 v3, v6, v11
	v_fmac_f32_e32 v30, 0xbf167918, v67
	s_delay_alu instid0(VALU_DEP_4) | instskip(SKIP_1) | instid1(VALU_DEP_3)
	v_dual_fmac_f32 v57, 0x3f167918, v67 :: v_dual_sub_f32 v12, v71, v17
	v_add_f32_e32 v20, v71, v17
	v_fmac_f32_e32 v30, 0x3e9e377a, v5
	v_dual_mul_f32 v24, 0xbf737871, v43 :: v_dual_mul_f32 v25, 0xbf737871, v29
	v_mul_f32_e32 v11, 0xbe9e377a, v43
	s_delay_alu instid0(VALU_DEP_3) | instskip(NEXT) | instid1(VALU_DEP_3)
	v_add_f32_e32 v19, v30, v26
	v_fmac_f32_e32 v24, 0xbe9e377a, v42
	s_delay_alu instid0(VALU_DEP_4) | instskip(NEXT) | instid1(VALU_DEP_4)
	v_fmac_f32_e32 v25, 0x3e9e377a, v23
	v_fmac_f32_e32 v11, 0x3f737871, v42
	;; [unrolled: 1-line block ×4, first 2 shown]
	s_delay_alu instid0(VALU_DEP_3) | instskip(NEXT) | instid1(VALU_DEP_2)
	v_dual_add_f32 v15, v58, v24 :: v_dual_add_f32 v16, v41, v11
	v_dual_fmac_f32 v57, 0x3e9e377a, v5 :: v_dual_sub_f32 v6, v33, v7
	s_delay_alu instid0(VALU_DEP_4) | instskip(SKIP_1) | instid1(VALU_DEP_3)
	v_dual_sub_f32 v8, v41, v11 :: v_dual_add_f32 v17, v31, v25
	v_add_f32_e32 v14, v33, v7
	v_add_f32_e32 v13, v57, v22
	v_sub_f32_e32 v9, v31, v25
	v_sub_f32_e32 v11, v30, v26
	;; [unrolled: 1-line block ×4, first 2 shown]
	ds_store_2addr_b64 v36, v[3:4], v[19:20] offset0:84 offset1:138
	ds_store_2addr_b64 v36, v[17:18], v[15:16] offset0:192 offset1:246
	ds_store_2addr_b64 v56, v[13:14], v[1:2] offset0:44 offset1:98
	ds_store_2addr_b64 v56, v[11:12], v[9:10] offset0:152 offset1:206
	ds_store_2addr_b64 v35, v[7:8], v[5:6] offset0:4 offset1:58
.LBB0_34:
	s_or_b32 exec_lo, exec_lo, s2
	v_subrev_nc_u32_e32 v7, 60, v44
	v_cmp_gt_u32_e32 vcc_lo, 0x21c, v0
	v_mul_lo_u16 v5, 0x45, v45
	v_mov_b32_e32 v2, 0
	v_mul_lo_u16 v6, 0x89, v47
	v_mul_lo_u16 v8, 0x89, v48
	v_cndmask_b32_e32 v1, v7, v44, vcc_lo
	v_lshrrev_b16 v36, 12, v5
	v_mul_lo_u16 v5, 0x89, v49
	v_lshrrev_b16 v60, 13, v6
	v_lshrrev_b16 v61, 13, v8
	v_lshlrev_b64 v[3:4], 3, v[1:2]
	v_mul_lo_u16 v9, v36, 60
	v_lshrrev_b16 v62, 13, v5
	v_mul_lo_u16 v8, v60, 60
	s_waitcnt lgkmcnt(0)
	s_barrier
	v_add_co_u32 v3, s2, s6, v3
	s_delay_alu instid0(VALU_DEP_1)
	v_add_co_ci_u32_e64 v4, s2, s7, v4, s2
	v_sub_nc_u16 v5, v45, v9
	buffer_gl0_inv
	v_mul_lo_u16 v6, 0x89, v46
	global_load_b64 v[20:21], v[3:4], off offset:464
	v_sub_nc_u16 v8, v47, v8
	v_and_b32_e32 v64, 0xff, v5
	v_mul_lo_u16 v9, v62, 60
	v_lshrrev_b16 v63, 13, v6
	v_mul_lo_u16 v6, v61, 60
	v_and_b32_e32 v65, 0xff, v8
	v_lshlrev_b32_e32 v3, 3, v64
	v_cmp_lt_u32_e64 s2, 0x21b, v0
	v_mul_lo_u16 v10, v63, 60
	v_sub_nc_u16 v5, v48, v6
	v_lshlrev_b32_e32 v4, 3, v65
	global_load_b64 v[22:23], v3, s[6:7] offset:464
	v_sub_nc_u16 v6, v49, v9
	v_sub_nc_u16 v8, v46, v10
	v_cndmask_b32_e64 v12, 0, 0x78, s2
	global_load_b64 v[24:25], v4, s[6:7] offset:464
	v_and_b32_e32 v66, 0xff, v5
	v_and_b32_e32 v67, 0xff, v6
	;; [unrolled: 1-line block ×3, first 2 shown]
	s_delay_alu instid0(VALU_DEP_3) | instskip(NEXT) | instid1(VALU_DEP_3)
	v_lshlrev_b32_e32 v5, 3, v66
	v_lshlrev_b32_e32 v3, 3, v67
	s_delay_alu instid0(VALU_DEP_3)
	v_lshlrev_b32_e32 v4, 3, v68
	s_clause 0x2
	global_load_b64 v[26:27], v5, s[6:7] offset:464
	global_load_b64 v[28:29], v3, s[6:7] offset:464
	;; [unrolled: 1-line block ×3, first 2 shown]
	ds_load_b64 v[32:33], v50
	ds_load_b64 v[34:35], v51
	ds_load_b32 v69, v51 offset:4
	ds_load_b32 v70, v54
	ds_load_b64 v[40:41], v54
	v_add_nc_u32_e32 v3, 0x2000, v50
	ds_load_b32 v71, v54 offset:4
	ds_load_b32 v72, v55
	ds_load_b64 v[42:43], v55
	ds_load_b32 v73, v55 offset:4
	ds_load_b32 v74, v52
	ds_load_b64 v[56:57], v52
	ds_load_b32 v75, v51
	ds_load_b32 v76, v52 offset:4
	v_and_b32_e32 v36, 0xffff, v36
	v_mul_u32_u24_e32 v5, 0x48, v46
	ds_load_2addr_b64 v[8:11], v3 offset0:56 offset1:236
	v_add_nc_u32_e32 v4, 0x2c00, v50
	v_add_nc_u32_e32 v6, 0x3800, v50
	v_mad_u32_u24 v36, 0x78, v36, v64
	v_add3_u32 v5, 0, v5, v53
	s_delay_alu instid0(VALU_DEP_2) | instskip(NEXT) | instid1(VALU_DEP_1)
	v_mul_u32_u24_e32 v36, 0x48, v36
	v_add3_u32 v36, 0, v36, v53
	s_waitcnt vmcnt(5) lgkmcnt(0)
	v_mul_f32_e32 v64, v21, v9
	v_mul_f32_e32 v21, v21, v8
	s_delay_alu instid0(VALU_DEP_2) | instskip(NEXT) | instid1(VALU_DEP_2)
	v_fmac_f32_e32 v64, v20, v8
	v_fma_f32 v9, v20, v9, -v21
	v_and_b32_e32 v62, 0xffff, v62
	s_delay_alu instid0(VALU_DEP_2)
	v_dual_sub_f32 v8, v32, v64 :: v_dual_sub_f32 v9, v33, v9
	s_waitcnt vmcnt(4)
	v_dual_mul_f32 v20, v23, v11 :: v_dual_add_nc_u32 v1, v1, v12
	ds_load_2addr_b64 v[12:15], v4 offset0:32 offset1:212
	ds_load_2addr_b64 v[16:19], v6 offset0:8 offset1:188
	ds_load_b64 v[58:59], v5
	v_and_b32_e32 v60, 0xffff, v60
	v_and_b32_e32 v61, 0xffff, v61
	v_mul_f32_e32 v21, v23, v10
	v_mad_u32_u24 v62, 0x78, v62, v67
	v_fmac_f32_e32 v20, v22, v10
	v_mul_i32_i24_e32 v1, 0x48, v1
	v_mad_u32_u24 v61, 0x78, v61, v66
	v_fma_f32 v21, v22, v11, -v21
	v_mul_u32_u24_e32 v62, 0x48, v62
	v_fma_f32 v10, v32, 2.0, -v8
	v_add3_u32 v1, 0, v1, v53
	v_mul_u32_u24_e32 v61, 0x48, v61
	v_fma_f32 v11, v33, 2.0, -v9
	v_add3_u32 v62, 0, v62, v53
	s_waitcnt vmcnt(0) lgkmcnt(0)
	s_barrier
	v_add3_u32 v61, 0, v61, v53
	v_dual_mul_f32 v23, v25, v13 :: v_dual_mul_f32 v66, v19, v31
	v_mul_f32_e32 v31, v18, v31
	v_mad_u32_u24 v60, 0x78, v60, v65
	v_mul_f32_e32 v65, v29, v17
	s_delay_alu instid0(VALU_DEP_4) | instskip(SKIP_1) | instid1(VALU_DEP_4)
	v_dual_mul_f32 v25, v25, v12 :: v_dual_fmac_f32 v66, v18, v30
	v_mul_f32_e32 v29, v29, v16
	v_mul_u32_u24_e32 v60, 0x48, v60
	s_delay_alu instid0(VALU_DEP_4)
	v_fmac_f32_e32 v65, v28, v16
	v_and_b32_e32 v63, 0xffff, v63
	v_fma_f32 v22, v24, v13, -v25
	v_fma_f32 v25, v28, v17, -v29
	v_add3_u32 v60, 0, v60, v53
	v_sub_f32_e32 v18, v56, v65
	v_mad_u32_u24 v63, 0x78, v63, v68
	v_sub_f32_e32 v13, v35, v21
	buffer_gl0_inv
	ds_store_b64 v1, v[10:11]
	ds_store_b64 v1, v[8:9] offset:4320
	v_mul_u32_u24_e32 v63, 0x48, v63
	v_fma_f32 v9, v69, 2.0, -v13
	s_delay_alu instid0(VALU_DEP_2) | instskip(SKIP_2) | instid1(VALU_DEP_2)
	v_add3_u32 v53, 0, v63, v53
	v_mul_f32_e32 v63, v27, v15
	v_mul_f32_e32 v27, v27, v14
	v_fmac_f32_e32 v63, v26, v14
	v_fmac_f32_e32 v23, v24, v12
	s_delay_alu instid0(VALU_DEP_3)
	v_fma_f32 v24, v26, v15, -v27
	v_fma_f32 v26, v19, v30, -v31
	v_sub_f32_e32 v12, v34, v20
	v_sub_f32_e32 v16, v42, v63
	v_dual_sub_f32 v14, v40, v23 :: v_dual_sub_f32 v15, v41, v22
	v_sub_f32_e32 v17, v43, v24
	v_dual_sub_f32 v19, v57, v25 :: v_dual_sub_f32 v20, v58, v66
	v_sub_f32_e32 v21, v59, v26
	v_fma_f32 v8, v75, 2.0, -v12
	v_fma_f32 v10, v70, 2.0, -v14
	;; [unrolled: 1-line block ×9, first 2 shown]
	ds_store_b64 v36, v[8:9]
	ds_store_b64 v36, v[12:13] offset:4320
	ds_store_b64 v60, v[10:11]
	ds_store_b64 v60, v[14:15] offset:4320
	;; [unrolled: 2-line block ×5, first 2 shown]
	s_waitcnt lgkmcnt(0)
	s_barrier
	buffer_gl0_inv
	s_and_saveexec_b32 s2, s3
	s_cbranch_execz .LBB0_36
; %bb.35:
	v_subrev_nc_u32_e32 v1, 20, v44
	v_cmp_gt_u32_e64 s2, 0xb4, v0
	v_subrev_nc_u32_e32 v8, 40, v44
	v_dual_cndmask_b32 v15, v7, v48 :: v_dual_mov_b32 v16, v2
	v_cmp_gt_u32_e32 vcc_lo, 0x2d0, v0
	s_delay_alu instid0(VALU_DEP_4)
	v_cndmask_b32_e64 v1, v1, v46, s2
	v_cmp_gt_u32_e64 s2, 0x168, v0
	v_mov_b32_e32 v11, v2
	v_mov_b32_e32 v17, v2
	s_load_b64 s[0:1], s[0:1], 0x8
	v_mul_lo_u32 v42, v39, v1
	v_cndmask_b32_e64 v10, v8, v49, s2
	v_lshlrev_b64 v[8:9], 3, v[1:2]
	v_mov_b32_e32 v22, v2
	s_delay_alu instid0(VALU_DEP_3) | instskip(SKIP_1) | instid1(VALU_DEP_4)
	v_lshlrev_b64 v[11:12], 3, v[10:11]
	v_mul_lo_u32 v53, v39, v10
	v_add_co_u32 v8, s2, s6, v8
	s_delay_alu instid0(VALU_DEP_1) | instskip(NEXT) | instid1(VALU_DEP_4)
	v_add_co_ci_u32_e64 v9, s2, s7, v9, s2
	v_add_co_u32 v11, s2, s6, v11
	s_delay_alu instid0(VALU_DEP_1)
	v_add_co_ci_u32_e64 v12, s2, s7, v12, s2
	s_clause 0x1
	global_load_b64 v[13:14], v[8:9], off offset:944
	global_load_b64 v[11:12], v[11:12], off offset:944
	v_add_nc_u32_e32 v9, 0xffffffb0, v44
	v_lshlrev_b64 v[7:8], 3, v[15:16]
	s_delay_alu instid0(VALU_DEP_2) | instskip(SKIP_1) | instid1(VALU_DEP_3)
	v_cndmask_b32_e32 v16, v9, v47, vcc_lo
	v_add_nc_u32_e32 v9, 0x78, v15
	v_add_co_u32 v7, vcc_lo, s6, v7
	s_delay_alu instid0(VALU_DEP_4) | instskip(NEXT) | instid1(VALU_DEP_4)
	v_add_co_ci_u32_e32 v8, vcc_lo, s7, v8, vcc_lo
	v_lshlrev_b64 v[17:18], 3, v[16:17]
	s_delay_alu instid0(VALU_DEP_4)
	v_mul_lo_u32 v9, v39, v9
	v_mul_lo_u32 v57, v39, v16
	global_load_b64 v[19:20], v[7:8], off offset:944
	v_add_co_u32 v7, vcc_lo, s6, v17
	v_add_co_ci_u32_e32 v8, vcc_lo, s7, v18, vcc_lo
	v_cmp_gt_u32_e32 vcc_lo, 0x384, v0
	v_lshlrev_b32_e32 v0, 3, v44
	v_lshrrev_b32_e32 v64, 5, v57
	global_load_b64 v[17:18], v[7:8], off offset:944
	v_add_nc_u32_e32 v7, 0xffffff9c, v44
	v_and_b32_e32 v63, 0xff, v57
	s_delay_alu instid0(VALU_DEP_1) | instskip(NEXT) | instid1(VALU_DEP_1)
	v_dual_cndmask_b32 v21, v7, v45 :: v_dual_lshlrev_b32 v78, 3, v63
	v_lshlrev_b64 v[7:8], 3, v[21:22]
	global_load_b64 v[22:23], v0, s[6:7] offset:944
	v_mul_lo_u32 v0, v39, v38
	v_add_nc_u32_e32 v36, 0x78, v1
	v_add_co_u32 v7, vcc_lo, s6, v7
	v_add_co_ci_u32_e32 v8, vcc_lo, s7, v8, vcc_lo
	s_delay_alu instid0(VALU_DEP_3)
	v_mul_lo_u32 v36, v39, v36
	global_load_b64 v[24:25], v[7:8], off offset:944
	v_mul_lo_u32 v7, v39, v44
	v_and_b32_e32 v8, 0xff, v0
	v_lshrrev_b32_e32 v0, 5, v0
	v_mul_lo_u32 v59, v39, v21
	v_add_nc_u32_e32 v56, 0x78, v16
	v_add_nc_u32_e32 v58, 0x78, v21
	v_lshlrev_b32_e32 v8, 3, v8
	v_and_b32_e32 v0, 0x7f8, v0
	v_and_b32_e32 v30, 0xff, v7
	v_lshrrev_b32_e32 v7, 5, v7
	s_waitcnt lgkmcnt(0)
	s_clause 0x1
	global_load_b64 v[26:27], v8, s[0:1]
	global_load_b64 v[28:29], v0, s[0:1] offset:2048
	v_and_b32_e32 v8, 0xff, v9
	v_lshlrev_b32_e32 v0, 3, v30
	v_and_b32_e32 v7, 0x7f8, v7
	v_lshrrev_b32_e32 v9, 5, v9
	s_clause 0x1
	global_load_b64 v[30:31], v0, s[0:1]
	global_load_b64 v[32:33], v7, s[0:1] offset:2048
	v_lshlrev_b32_e32 v0, 3, v8
	v_and_b32_e32 v7, 0x7f8, v9
	s_clause 0x1
	global_load_b64 v[34:35], v0, s[0:1]
	global_load_b64 v[40:41], v7, s[0:1] offset:2048
	ds_load_2addr_b64 v[6:9], v6 offset0:8 offset1:188
	v_mul_lo_u32 v0, v39, v15
	v_mul_lo_u32 v62, v39, v56
	v_and_b32_e32 v65, 0xff, v59
	v_lshrrev_b32_e32 v66, 5, v59
	v_and_b32_e32 v59, 0xff, v36
	v_lshrrev_b32_e32 v36, 5, v36
	v_sub_nc_u32_e32 v16, v47, v16
	v_and_b32_e32 v60, 0xff, v0
	v_lshrrev_b32_e32 v0, 5, v0
	s_delay_alu instid0(VALU_DEP_4) | instskip(NEXT) | instid1(VALU_DEP_3)
	v_and_b32_e32 v36, 0x7f8, v36
	v_lshlrev_b32_e32 v56, 3, v60
	s_delay_alu instid0(VALU_DEP_3)
	v_and_b32_e32 v0, 0x7f8, v0
	s_waitcnt vmcnt(11) lgkmcnt(0)
	v_mul_f32_e32 v88, v9, v14
	v_add_nc_u32_e32 v43, 0x78, v10
	s_waitcnt vmcnt(10)
	v_mul_f32_e32 v89, v12, v7
	s_delay_alu instid0(VALU_DEP_3) | instskip(NEXT) | instid1(VALU_DEP_3)
	v_fmac_f32_e32 v88, v8, v13
	v_mul_lo_u32 v61, v39, v43
	v_and_b32_e32 v43, 0xff, v42
	v_lshrrev_b32_e32 v42, 5, v42
	v_mul_lo_u32 v39, v39, v58
	v_and_b32_e32 v58, 0xff, v53
	v_lshrrev_b32_e32 v53, 5, v53
	v_lshlrev_b32_e32 v67, 3, v43
	v_and_b32_e32 v68, 0x7f8, v42
	s_clause 0x1
	global_load_b64 v[42:43], v56, s[0:1]
	global_load_b64 v[56:57], v0, s[0:1] offset:2048
	v_lshlrev_b32_e32 v0, 3, v59
	v_and_b32_e32 v69, 0xff, v61
	v_lshrrev_b32_e32 v70, 5, v61
	v_lshlrev_b32_e32 v71, 3, v58
	s_clause 0x1
	global_load_b64 v[58:59], v0, s[0:1]
	global_load_b64 v[60:61], v36, s[0:1] offset:2048
	v_and_b32_e32 v0, 0x7f8, v53
	v_and_b32_e32 v36, 0xff, v62
	v_lshrrev_b32_e32 v53, 5, v62
	v_and_b32_e32 v62, 0xff, v39
	v_and_b32_e32 v86, 0x7f8, v66
	v_lshlrev_b32_e32 v66, 3, v69
	v_lshrrev_b32_e32 v39, 5, v39
	v_and_b32_e32 v69, 0x7f8, v70
	v_and_b32_e32 v80, 0x7f8, v64
	v_lshlrev_b32_e32 v84, 3, v65
	v_lshlrev_b32_e32 v36, 3, v36
	;; [unrolled: 1-line block ×3, first 2 shown]
	s_clause 0x5
	global_load_b64 v[62:63], v67, s[0:1]
	global_load_b64 v[64:65], v68, s[0:1] offset:2048
	global_load_b64 v[66:67], v66, s[0:1]
	global_load_b64 v[68:69], v69, s[0:1] offset:2048
	;; [unrolled: 2-line block ×3, first 2 shown]
	v_dual_mul_f32 v0, v8, v14 :: v_dual_and_b32 v53, 0x7f8, v53
	v_dual_mul_f32 v14, v12, v6 :: v_dual_and_b32 v39, 0x7f8, v39
	s_clause 0x3
	global_load_b64 v[74:75], v36, s[0:1]
	global_load_b64 v[76:77], v53, s[0:1] offset:2048
	global_load_b64 v[78:79], v78, s[0:1]
	global_load_b64 v[80:81], v80, s[0:1] offset:2048
	v_fma_f32 v90, v9, v13, -v0
	s_clause 0x3
	global_load_b64 v[12:13], v82, s[0:1]
	global_load_b64 v[82:83], v39, s[0:1] offset:2048
	global_load_b64 v[84:85], v84, s[0:1]
	global_load_b64 v[86:87], v86, s[0:1] offset:2048
	v_fma_f32 v91, v11, v7, -v14
	v_fmac_f32_e32 v89, v11, v6
	ds_load_2addr_b64 v[6:9], v4 offset0:32 offset1:212
	v_sub_nc_u32_e32 v11, v45, v21
	s_waitcnt vmcnt(27) lgkmcnt(0)
	s_delay_alu instid0(VALU_DEP_1) | instskip(SKIP_3) | instid1(VALU_DEP_3)
	v_dual_mul_f32 v0, v20, v8 :: v_dual_add_nc_u32 v45, v11, v45
	v_mul_f32_e32 v39, v20, v9
	s_waitcnt vmcnt(26)
	v_mul_f32_e32 v93, v18, v7
	v_fma_f32 v92, v19, v9, -v0
	s_delay_alu instid0(VALU_DEP_3) | instskip(NEXT) | instid1(VALU_DEP_3)
	v_dual_mul_f32 v0, v18, v6 :: v_dual_fmac_f32 v39, v19, v8
	v_fmac_f32_e32 v93, v17, v6
	s_delay_alu instid0(VALU_DEP_2)
	v_fma_f32 v94, v17, v7, -v0
	ds_load_2addr_b64 v[6:9], v3 offset0:56 offset1:236
	ds_load_b64 v[3:4], v5
	ds_load_b64 v[17:18], v52
	;; [unrolled: 1-line block ×3, first 2 shown]
	v_add_nc_u32_e32 v0, s9, v37
	v_sub_nc_u32_e32 v5, v48, v15
	ds_load_b64 v[14:15], v54
	ds_load_b64 v[36:37], v51
	v_mad_u64_u32 v[53:54], null, s8, v38, v[0:1]
	v_sub_nc_u32_e32 v38, v49, v10
	v_mad_u64_u32 v[51:52], null, s8, v44, v[0:1]
	v_mov_b32_e32 v52, v2
	v_mov_b32_e32 v54, v2
	s_delay_alu instid0(VALU_DEP_4)
	v_add_nc_u32_e32 v38, v38, v49
	s_waitcnt vmcnt(22)
	v_mul_f32_e32 v49, v26, v29
	v_lshlrev_b64 v[10:11], 3, v[51:52]
	s_waitcnt vmcnt(20)
	v_mul_f32_e32 v51, v30, v33
	s_delay_alu instid0(VALU_DEP_3)
	v_fmac_f32_e32 v49, v27, v28
	s_waitcnt lgkmcnt(5)
	v_dual_mul_f32 v5, v23, v6 :: v_dual_add_nc_u32 v44, v5, v48
	v_mul_f32_e32 v48, v23, v7
	v_fmac_f32_e32 v51, v32, v31
	v_dual_mul_f32 v55, v25, v9 :: v_dual_add_nc_u32 v16, v16, v47
	s_delay_alu instid0(VALU_DEP_4) | instskip(NEXT) | instid1(VALU_DEP_4)
	v_fma_f32 v47, v22, v7, -v5
	v_dual_mul_f32 v7, v25, v8 :: v_dual_fmac_f32 v48, v22, v6
	ds_load_b64 v[5:6], v50
	v_fmac_f32_e32 v55, v24, v8
	v_lshlrev_b64 v[21:22], 3, v[53:54]
	v_fma_f32 v50, v24, v9, -v7
	v_add_co_u32 v9, vcc_lo, s4, v10
	v_mad_u64_u32 v[7:8], null, s8, v44, v[0:1]
	v_add_nc_u32_e32 v44, 0x78, v44
	v_add_co_ci_u32_e32 v10, vcc_lo, s5, v11, vcc_lo
	v_mul_f32_e32 v11, v27, v29
	s_waitcnt lgkmcnt(3)
	v_dual_sub_f32 v39, v19, v39 :: v_dual_mov_b32 v8, v2
	v_sub_f32_e32 v54, v4, v90
	v_add_co_u32 v21, vcc_lo, s4, v21
	v_fma_f32 v11, v26, v28, -v11
	v_mad_u64_u32 v[27:28], null, s8, v44, v[0:1]
	v_mov_b32_e32 v28, v2
	v_mad_u64_u32 v[23:24], null, s8, v45, v[0:1]
	v_mul_f32_e32 v24, v31, v33
	v_add_nc_u32_e32 v45, 0x78, v45
	v_fma_f32 v19, v19, 2.0, -v39
	v_lshlrev_b64 v[7:8], 3, v[7:8]
	v_add_co_ci_u32_e32 v22, vcc_lo, s5, v22, vcc_lo
	v_fma_f32 v44, v30, v32, -v24
	v_mad_u64_u32 v[29:30], null, s8, v38, v[0:1]
	s_waitcnt vmcnt(18)
	v_mul_f32_e32 v30, v35, v41
	v_mul_f32_e32 v41, v34, v41
	v_mov_b32_e32 v24, v2
	v_add_co_u32 v7, vcc_lo, s4, v7
	s_delay_alu instid0(VALU_DEP_4) | instskip(NEXT) | instid1(VALU_DEP_4)
	v_fma_f32 v52, v34, v40, -v30
	v_fmac_f32_e32 v41, v35, v40
	s_waitcnt lgkmcnt(0)
	v_sub_f32_e32 v35, v5, v48
	v_sub_f32_e32 v48, v20, v92
	v_lshlrev_b64 v[23:24], 3, v[23:24]
	v_add_co_ci_u32_e32 v8, vcc_lo, s5, v8, vcc_lo
	s_delay_alu instid0(VALU_DEP_4) | instskip(SKIP_1) | instid1(VALU_DEP_4)
	v_fma_f32 v34, v5, 2.0, -v35
	v_sub_f32_e32 v55, v36, v55
	v_add_co_u32 v23, vcc_lo, s4, v23
	s_delay_alu instid0(VALU_DEP_3)
	v_mul_f32_e32 v53, v51, v34
	v_mad_u64_u32 v[25:26], null, s8, v16, v[0:1]
	v_add_nc_u32_e32 v16, 0x78, v16
	v_mul_f32_e32 v34, v44, v34
	v_mov_b32_e32 v26, v2
	v_add_co_ci_u32_e32 v24, vcc_lo, s5, v24, vcc_lo
	s_delay_alu instid0(VALU_DEP_4) | instskip(SKIP_4) | instid1(VALU_DEP_4)
	v_mad_u64_u32 v[32:33], null, s8, v16, v[0:1]
	v_sub_f32_e32 v16, v6, v47
	v_mad_u64_u32 v[30:31], null, s8, v45, v[0:1]
	v_mov_b32_e32 v31, v2
	v_lshlrev_b64 v[25:26], 3, v[25:26]
	v_fma_f32 v40, v6, 2.0, -v16
	v_lshlrev_b64 v[5:6], 3, v[27:28]
	v_dual_mul_f32 v27, v16, v49 :: v_dual_sub_f32 v50, v37, v50
	v_mov_b32_e32 v33, v2
	v_lshlrev_b64 v[30:31], 3, v[30:31]
	v_add_co_u32 v25, vcc_lo, s4, v25
	s_delay_alu instid0(VALU_DEP_4)
	v_fmac_f32_e32 v27, v35, v11
	v_fma_f32 v37, v37, 2.0, -v50
	v_lshlrev_b64 v[32:33], 3, v[32:33]
	v_add_co_ci_u32_e32 v26, vcc_lo, s5, v26, vcc_lo
	v_add_co_u32 v30, vcc_lo, s4, v30
	v_add_co_ci_u32_e32 v31, vcc_lo, s5, v31, vcc_lo
	v_sub_nc_u32_e32 v1, v46, v1
	v_add_co_u32 v32, vcc_lo, s4, v32
	v_add_co_ci_u32_e32 v33, vcc_lo, s5, v33, vcc_lo
	v_add_co_u32 v5, vcc_lo, s4, v5
	v_add_co_ci_u32_e32 v6, vcc_lo, s5, v6, vcc_lo
	v_fma_f32 v36, v36, 2.0, -v55
	s_waitcnt vmcnt(16)
	v_mul_f32_e32 v47, v42, v57
	v_mul_f32_e32 v45, v43, v57
	v_sub_f32_e32 v57, v18, v91
	s_delay_alu instid0(VALU_DEP_3)
	v_fmac_f32_e32 v47, v43, v56
	s_waitcnt vmcnt(14)
	v_mul_f32_e32 v28, v59, v61
	v_mul_f32_e32 v43, v58, v61
	v_fma_f32 v42, v42, v56, -v45
	v_mul_f32_e32 v45, v35, v49
	v_sub_f32_e32 v61, v14, v93
	v_fma_f32 v35, v40, v44, -v53
	v_fmac_f32_e32 v43, v59, v60
	v_sub_f32_e32 v56, v3, v88
	v_sub_f32_e32 v59, v15, v94
	v_add_nc_u32_e32 v38, 0x78, v38
	v_fma_f32 v18, v18, 2.0, -v57
	s_delay_alu instid0(VALU_DEP_3)
	v_fma_f32 v88, v15, 2.0, -v59
	s_waitcnt vmcnt(2)
	v_mul_f32_e32 v53, v12, v83
	v_fma_f32 v49, v58, v60, -v28
	v_mul_f32_e32 v28, v63, v65
	v_mul_f32_e32 v60, v62, v65
	v_dual_mul_f32 v65, v71, v73 :: v_dual_mul_f32 v44, v13, v83
	v_fmac_f32_e32 v53, v13, v82
	s_delay_alu instid0(VALU_DEP_4) | instskip(NEXT) | instid1(VALU_DEP_4)
	v_fma_f32 v62, v62, v64, -v28
	v_fmac_f32_e32 v60, v63, v64
	v_mul_f32_e32 v63, v67, v69
	v_fma_f32 v28, v16, v11, -v45
	v_mul_f32_e32 v16, v75, v77
	v_mul_f32_e32 v45, v74, v77
	;; [unrolled: 1-line block ×4, first 2 shown]
	v_sub_f32_e32 v58, v17, v89
	v_dual_mul_f32 v77, v78, v81 :: v_dual_fmac_f32 v34, v40, v51
	v_fma_f32 v51, v4, 2.0, -v54
	v_fma_f32 v89, v14, 2.0, -v61
	s_waitcnt vmcnt(0)
	v_mul_f32_e32 v14, v84, v87
	v_fma_f32 v20, v20, 2.0, -v48
	v_dual_mul_f32 v73, v79, v81 :: v_dual_mul_f32 v40, v85, v87
	v_fma_f32 v81, v3, 2.0, -v56
	v_mul_f32_e32 v3, v48, v41
	v_fmac_f32_e32 v69, v71, v72
	v_fma_f32 v83, v17, 2.0, -v58
	v_fmac_f32_e32 v45, v75, v76
	v_fmac_f32_e32 v64, v67, v68
	;; [unrolled: 1-line block ×3, first 2 shown]
	s_clause 0x1
	global_store_b64 v[9:10], v[34:35], off
	global_store_b64 v[21:22], v[27:28], off
	v_dual_mul_f32 v9, v54, v43 :: v_dual_mul_f32 v4, v39, v41
	v_mul_f32_e32 v15, v57, v64
	v_mul_f32_e32 v41, v19, v47
	v_dual_mul_f32 v13, v51, v60 :: v_dual_fmac_f32 v14, v85, v86
	v_mul_f32_e32 v17, v18, v69
	v_mul_f32_e32 v11, v20, v47
	v_fma_f32 v63, v66, v68, -v63
	v_fma_f32 v47, v74, v76, -v16
	v_fma_f32 v66, v78, v80, -v73
	v_fma_f32 v44, v12, v82, -v44
	v_fma_f32 v40, v84, v86, -v40
	v_dual_mul_f32 v16, v81, v60 :: v_dual_fmac_f32 v11, v19, v42
	v_dual_mul_f32 v22, v58, v64 :: v_dual_mul_f32 v19, v59, v45
	v_mul_f32_e32 v28, v83, v69
	v_fma_f32 v12, v20, v42, -v41
	v_mul_f32_e32 v41, v36, v14
	v_dual_mul_f32 v21, v88, v77 :: v_dual_mul_f32 v34, v37, v14
	v_mul_f32_e32 v35, v89, v77
	v_fma_f32 v65, v70, v72, -v65
	v_dual_mul_f32 v10, v56, v43 :: v_dual_fmac_f32 v3, v39, v52
	v_mul_f32_e32 v39, v55, v53
	v_mul_f32_e32 v27, v50, v53
	v_dual_mul_f32 v20, v61, v45 :: v_dual_fmac_f32 v15, v58, v63
	v_fma_f32 v14, v51, v62, -v16
	v_fma_f32 v16, v57, v63, -v22
	v_fmac_f32_e32 v34, v36, v40
	v_fma_f32 v22, v88, v66, -v35
	v_fma_f32 v35, v37, v40, -v41
	;; [unrolled: 1-line block ×4, first 2 shown]
	v_fmac_f32_e32 v27, v55, v44
	v_fmac_f32_e32 v21, v89, v66
	v_fma_f32 v20, v59, v47, -v20
	v_fmac_f32_e32 v19, v61, v47
	s_clause 0x4
	global_store_b64 v[23:24], v[34:35], off
	global_store_b64 v[30:31], v[27:28], off
	;; [unrolled: 1-line block ×5, first 2 shown]
	v_mad_u64_u32 v[7:8], null, s8, v38, v[0:1]
	v_dual_mov_b32 v30, v2 :: v_dual_add_nc_u32 v1, v1, v46
	v_dual_fmac_f32 v9, v56, v49 :: v_dual_mov_b32 v8, v2
	v_fmac_f32_e32 v13, v81, v62
	s_delay_alu instid0(VALU_DEP_3) | instskip(NEXT) | instid1(VALU_DEP_4)
	v_add_nc_u32_e32 v23, 0x78, v1
	v_lshlrev_b64 v[11:12], 3, v[29:30]
	v_mad_u64_u32 v[19:20], null, s8, v1, v[0:1]
	v_mov_b32_e32 v20, v2
	s_delay_alu instid0(VALU_DEP_4)
	v_mad_u64_u32 v[21:22], null, s8, v23, v[0:1]
	v_lshlrev_b64 v[7:8], 3, v[7:8]
	v_add_co_u32 v0, vcc_lo, s4, v11
	v_mov_b32_e32 v22, v2
	v_add_co_ci_u32_e32 v1, vcc_lo, s5, v12, vcc_lo
	v_lshlrev_b64 v[11:12], 3, v[19:20]
	v_add_co_u32 v7, vcc_lo, s4, v7
	s_delay_alu instid0(VALU_DEP_4) | instskip(SKIP_1) | instid1(VALU_DEP_4)
	v_lshlrev_b64 v[19:20], 3, v[21:22]
	v_add_co_ci_u32_e32 v8, vcc_lo, s5, v8, vcc_lo
	v_add_co_u32 v11, vcc_lo, s4, v11
	v_fma_f32 v4, v48, v52, -v4
	v_fmac_f32_e32 v17, v83, v65
	v_add_co_ci_u32_e32 v12, vcc_lo, s5, v12, vcc_lo
	v_add_co_u32 v19, vcc_lo, s4, v19
	v_fma_f32 v10, v54, v49, -v10
	v_add_co_ci_u32_e32 v20, vcc_lo, s5, v20, vcc_lo
	s_clause 0x4
	global_store_b64 v[5:6], v[3:4], off
	global_store_b64 v[0:1], v[17:18], off
	;; [unrolled: 1-line block ×5, first 2 shown]
.LBB0_36:
	s_nop 0
	s_sendmsg sendmsg(MSG_DEALLOC_VGPRS)
	s_endpgm
	.section	.rodata,"a",@progbits
	.p2align	6, 0x0
	.amdhsa_kernel fft_rtc_back_len240_factors_2_3_10_2_2_wgs_180_tpt_20_dim3_sp_ip_CI_sbcc_twdbase8_2step_dirReg_intrinsicReadWrite
		.amdhsa_group_segment_fixed_size 0
		.amdhsa_private_segment_fixed_size 0
		.amdhsa_kernarg_size 88
		.amdhsa_user_sgpr_count 15
		.amdhsa_user_sgpr_dispatch_ptr 0
		.amdhsa_user_sgpr_queue_ptr 0
		.amdhsa_user_sgpr_kernarg_segment_ptr 1
		.amdhsa_user_sgpr_dispatch_id 0
		.amdhsa_user_sgpr_private_segment_size 0
		.amdhsa_wavefront_size32 1
		.amdhsa_uses_dynamic_stack 0
		.amdhsa_enable_private_segment 0
		.amdhsa_system_sgpr_workgroup_id_x 1
		.amdhsa_system_sgpr_workgroup_id_y 0
		.amdhsa_system_sgpr_workgroup_id_z 0
		.amdhsa_system_sgpr_workgroup_info 0
		.amdhsa_system_vgpr_workitem_id 0
		.amdhsa_next_free_vgpr 95
		.amdhsa_next_free_sgpr 26
		.amdhsa_reserve_vcc 1
		.amdhsa_float_round_mode_32 0
		.amdhsa_float_round_mode_16_64 0
		.amdhsa_float_denorm_mode_32 3
		.amdhsa_float_denorm_mode_16_64 3
		.amdhsa_dx10_clamp 1
		.amdhsa_ieee_mode 1
		.amdhsa_fp16_overflow 0
		.amdhsa_workgroup_processor_mode 1
		.amdhsa_memory_ordered 1
		.amdhsa_forward_progress 0
		.amdhsa_shared_vgpr_count 0
		.amdhsa_exception_fp_ieee_invalid_op 0
		.amdhsa_exception_fp_denorm_src 0
		.amdhsa_exception_fp_ieee_div_zero 0
		.amdhsa_exception_fp_ieee_overflow 0
		.amdhsa_exception_fp_ieee_underflow 0
		.amdhsa_exception_fp_ieee_inexact 0
		.amdhsa_exception_int_div_zero 0
	.end_amdhsa_kernel
	.text
.Lfunc_end0:
	.size	fft_rtc_back_len240_factors_2_3_10_2_2_wgs_180_tpt_20_dim3_sp_ip_CI_sbcc_twdbase8_2step_dirReg_intrinsicReadWrite, .Lfunc_end0-fft_rtc_back_len240_factors_2_3_10_2_2_wgs_180_tpt_20_dim3_sp_ip_CI_sbcc_twdbase8_2step_dirReg_intrinsicReadWrite
                                        ; -- End function
	.section	.AMDGPU.csdata,"",@progbits
; Kernel info:
; codeLenInByte = 9676
; NumSgprs: 28
; NumVgprs: 95
; ScratchSize: 0
; MemoryBound: 0
; FloatMode: 240
; IeeeMode: 1
; LDSByteSize: 0 bytes/workgroup (compile time only)
; SGPRBlocks: 3
; VGPRBlocks: 11
; NumSGPRsForWavesPerEU: 28
; NumVGPRsForWavesPerEU: 95
; Occupancy: 15
; WaveLimiterHint : 1
; COMPUTE_PGM_RSRC2:SCRATCH_EN: 0
; COMPUTE_PGM_RSRC2:USER_SGPR: 15
; COMPUTE_PGM_RSRC2:TRAP_HANDLER: 0
; COMPUTE_PGM_RSRC2:TGID_X_EN: 1
; COMPUTE_PGM_RSRC2:TGID_Y_EN: 0
; COMPUTE_PGM_RSRC2:TGID_Z_EN: 0
; COMPUTE_PGM_RSRC2:TIDIG_COMP_CNT: 0
	.text
	.p2alignl 7, 3214868480
	.fill 96, 4, 3214868480
	.type	__hip_cuid_624b408a6f9eaba0,@object ; @__hip_cuid_624b408a6f9eaba0
	.section	.bss,"aw",@nobits
	.globl	__hip_cuid_624b408a6f9eaba0
__hip_cuid_624b408a6f9eaba0:
	.byte	0                               ; 0x0
	.size	__hip_cuid_624b408a6f9eaba0, 1

	.ident	"AMD clang version 19.0.0git (https://github.com/RadeonOpenCompute/llvm-project roc-6.4.0 25133 c7fe45cf4b819c5991fe208aaa96edf142730f1d)"
	.section	".note.GNU-stack","",@progbits
	.addrsig
	.addrsig_sym __hip_cuid_624b408a6f9eaba0
	.amdgpu_metadata
---
amdhsa.kernels:
  - .args:
      - .actual_access:  read_only
        .address_space:  global
        .offset:         0
        .size:           8
        .value_kind:     global_buffer
      - .address_space:  global
        .offset:         8
        .size:           8
        .value_kind:     global_buffer
      - .actual_access:  read_only
        .address_space:  global
        .offset:         16
        .size:           8
        .value_kind:     global_buffer
      - .actual_access:  read_only
        .address_space:  global
        .offset:         24
        .size:           8
        .value_kind:     global_buffer
      - .offset:         32
        .size:           8
        .value_kind:     by_value
      - .actual_access:  read_only
        .address_space:  global
        .offset:         40
        .size:           8
        .value_kind:     global_buffer
      - .actual_access:  read_only
        .address_space:  global
        .offset:         48
        .size:           8
        .value_kind:     global_buffer
      - .offset:         56
        .size:           4
        .value_kind:     by_value
      - .actual_access:  read_only
        .address_space:  global
        .offset:         64
        .size:           8
        .value_kind:     global_buffer
      - .actual_access:  read_only
        .address_space:  global
        .offset:         72
        .size:           8
        .value_kind:     global_buffer
      - .address_space:  global
        .offset:         80
        .size:           8
        .value_kind:     global_buffer
    .group_segment_fixed_size: 0
    .kernarg_segment_align: 8
    .kernarg_segment_size: 88
    .language:       OpenCL C
    .language_version:
      - 2
      - 0
    .max_flat_workgroup_size: 180
    .name:           fft_rtc_back_len240_factors_2_3_10_2_2_wgs_180_tpt_20_dim3_sp_ip_CI_sbcc_twdbase8_2step_dirReg_intrinsicReadWrite
    .private_segment_fixed_size: 0
    .sgpr_count:     28
    .sgpr_spill_count: 0
    .symbol:         fft_rtc_back_len240_factors_2_3_10_2_2_wgs_180_tpt_20_dim3_sp_ip_CI_sbcc_twdbase8_2step_dirReg_intrinsicReadWrite.kd
    .uniform_work_group_size: 1
    .uses_dynamic_stack: false
    .vgpr_count:     95
    .vgpr_spill_count: 0
    .wavefront_size: 32
    .workgroup_processor_mode: 1
amdhsa.target:   amdgcn-amd-amdhsa--gfx1100
amdhsa.version:
  - 1
  - 2
...

	.end_amdgpu_metadata
